;; amdgpu-corpus repo=ROCm/rocFFT kind=compiled arch=gfx950 opt=O3
	.text
	.amdgcn_target "amdgcn-amd-amdhsa--gfx950"
	.amdhsa_code_object_version 6
	.protected	fft_rtc_fwd_len2560_factors_4_4_4_10_4_wgs_128_tpt_128_halfLds_sp_op_CI_CI_unitstride_sbrr_dirReg ; -- Begin function fft_rtc_fwd_len2560_factors_4_4_4_10_4_wgs_128_tpt_128_halfLds_sp_op_CI_CI_unitstride_sbrr_dirReg
	.globl	fft_rtc_fwd_len2560_factors_4_4_4_10_4_wgs_128_tpt_128_halfLds_sp_op_CI_CI_unitstride_sbrr_dirReg
	.p2align	8
	.type	fft_rtc_fwd_len2560_factors_4_4_4_10_4_wgs_128_tpt_128_halfLds_sp_op_CI_CI_unitstride_sbrr_dirReg,@function
fft_rtc_fwd_len2560_factors_4_4_4_10_4_wgs_128_tpt_128_halfLds_sp_op_CI_CI_unitstride_sbrr_dirReg: ; @fft_rtc_fwd_len2560_factors_4_4_4_10_4_wgs_128_tpt_128_halfLds_sp_op_CI_CI_unitstride_sbrr_dirReg
; %bb.0:
	s_load_dwordx4 s[4:7], s[0:1], 0x58
	s_load_dwordx4 s[8:11], s[0:1], 0x0
	;; [unrolled: 1-line block ×3, first 2 shown]
	v_mov_b32_e32 v4, s2
	v_mov_b32_e32 v2, 0
	v_mov_b32_e32 v5, v2
	s_waitcnt lgkmcnt(0)
	v_cmp_lt_u64_e64 s[2:3], s[10:11], 2
	s_and_b64 vcc, exec, s[2:3]
	v_mov_b64_e32 v[14:15], 0
	s_cbranch_vccnz .LBB0_8
; %bb.1:
	s_load_dwordx2 s[2:3], s[0:1], 0x10
	s_add_u32 s16, s14, 8
	s_addc_u32 s17, s15, 0
	s_add_u32 s18, s12, 8
	s_addc_u32 s19, s13, 0
	s_waitcnt lgkmcnt(0)
	s_add_u32 s20, s2, 8
	v_mov_b64_e32 v[14:15], 0
	s_addc_u32 s21, s3, 0
	s_mov_b64 s[22:23], 1
	v_mov_b64_e32 v[10:11], v[14:15]
.LBB0_2:                                ; =>This Inner Loop Header: Depth=1
	s_load_dwordx2 s[24:25], s[20:21], 0x0
                                        ; implicit-def: $vgpr6_vgpr7
	s_waitcnt lgkmcnt(0)
	v_or_b32_e32 v3, s25, v5
	v_cmp_ne_u64_e32 vcc, 0, v[2:3]
	s_and_saveexec_b64 s[2:3], vcc
	s_xor_b64 s[26:27], exec, s[2:3]
	s_cbranch_execz .LBB0_4
; %bb.3:                                ;   in Loop: Header=BB0_2 Depth=1
	v_cvt_f32_u32_e32 v1, s24
	v_cvt_f32_u32_e32 v3, s25
	s_sub_u32 s2, 0, s24
	s_subb_u32 s3, 0, s25
	v_fmac_f32_e32 v1, 0x4f800000, v3
	v_rcp_f32_e32 v1, v1
	s_nop 0
	v_mul_f32_e32 v1, 0x5f7ffffc, v1
	v_mul_f32_e32 v3, 0x2f800000, v1
	v_trunc_f32_e32 v3, v3
	v_fmac_f32_e32 v1, 0xcf800000, v3
	v_cvt_u32_f32_e32 v3, v3
	v_cvt_u32_f32_e32 v1, v1
	v_mul_lo_u32 v6, s2, v3
	v_mul_hi_u32 v8, s2, v1
	v_mul_lo_u32 v7, s3, v1
	v_add_u32_e32 v8, v8, v6
	v_mul_lo_u32 v12, s2, v1
	v_add_u32_e32 v13, v8, v7
	v_mul_hi_u32 v6, v1, v12
	v_mul_hi_u32 v9, v1, v13
	v_mul_lo_u32 v8, v1, v13
	v_mov_b32_e32 v7, v2
	v_lshl_add_u64 v[6:7], v[6:7], 0, v[8:9]
	v_mul_hi_u32 v9, v3, v12
	v_mul_lo_u32 v12, v3, v12
	v_add_co_u32_e32 v6, vcc, v6, v12
	v_mul_hi_u32 v8, v3, v13
	s_nop 0
	v_addc_co_u32_e32 v6, vcc, v7, v9, vcc
	v_mov_b32_e32 v7, v2
	s_nop 0
	v_addc_co_u32_e32 v9, vcc, 0, v8, vcc
	v_mul_lo_u32 v8, v3, v13
	v_lshl_add_u64 v[6:7], v[6:7], 0, v[8:9]
	v_add_co_u32_e32 v1, vcc, v1, v6
	v_mul_lo_u32 v8, s2, v1
	s_nop 0
	v_addc_co_u32_e32 v3, vcc, v3, v7, vcc
	v_mul_lo_u32 v6, s2, v3
	v_mul_hi_u32 v7, s2, v1
	v_add_u32_e32 v6, v7, v6
	v_mul_lo_u32 v7, s3, v1
	v_add_u32_e32 v12, v6, v7
	v_mul_hi_u32 v16, v3, v8
	v_mul_lo_u32 v17, v3, v8
	v_mul_hi_u32 v7, v1, v12
	v_mul_lo_u32 v6, v1, v12
	v_mul_hi_u32 v8, v1, v8
	v_mov_b32_e32 v9, v2
	v_lshl_add_u64 v[6:7], v[8:9], 0, v[6:7]
	v_add_co_u32_e32 v6, vcc, v6, v17
	v_mul_hi_u32 v13, v3, v12
	s_nop 0
	v_addc_co_u32_e32 v6, vcc, v7, v16, vcc
	v_mul_lo_u32 v8, v3, v12
	s_nop 0
	v_addc_co_u32_e32 v9, vcc, 0, v13, vcc
	v_mov_b32_e32 v7, v2
	v_lshl_add_u64 v[6:7], v[6:7], 0, v[8:9]
	v_add_co_u32_e32 v1, vcc, v1, v6
	v_mul_hi_u32 v8, v4, v1
	s_nop 0
	v_addc_co_u32_e32 v3, vcc, v3, v7, vcc
	v_mad_u64_u32 v[6:7], s[2:3], v4, v3, 0
	v_mov_b32_e32 v9, v2
	v_lshl_add_u64 v[6:7], v[8:9], 0, v[6:7]
	v_mad_u64_u32 v[12:13], s[2:3], v5, v1, 0
	v_add_co_u32_e32 v1, vcc, v6, v12
	v_mad_u64_u32 v[8:9], s[2:3], v5, v3, 0
	s_nop 0
	v_addc_co_u32_e32 v6, vcc, v7, v13, vcc
	v_mov_b32_e32 v7, v2
	s_nop 0
	v_addc_co_u32_e32 v9, vcc, 0, v9, vcc
	v_lshl_add_u64 v[6:7], v[6:7], 0, v[8:9]
	v_mul_lo_u32 v1, s25, v6
	v_mul_lo_u32 v3, s24, v7
	v_mad_u64_u32 v[8:9], s[2:3], s24, v6, 0
	v_add3_u32 v1, v9, v3, v1
	v_sub_u32_e32 v3, v5, v1
	v_mov_b32_e32 v9, s25
	v_sub_co_u32_e32 v16, vcc, v4, v8
	v_lshl_add_u64 v[12:13], v[6:7], 0, 1
	s_nop 0
	v_subb_co_u32_e64 v3, s[2:3], v3, v9, vcc
	v_subrev_co_u32_e64 v8, s[2:3], s24, v16
	v_subb_co_u32_e32 v1, vcc, v5, v1, vcc
	s_nop 0
	v_subbrev_co_u32_e64 v3, s[2:3], 0, v3, s[2:3]
	v_cmp_le_u32_e64 s[2:3], s25, v3
	v_cmp_le_u32_e32 vcc, s25, v1
	s_nop 0
	v_cndmask_b32_e64 v9, 0, -1, s[2:3]
	v_cmp_le_u32_e64 s[2:3], s24, v8
	s_nop 1
	v_cndmask_b32_e64 v8, 0, -1, s[2:3]
	v_cmp_eq_u32_e64 s[2:3], s25, v3
	s_nop 1
	v_cndmask_b32_e64 v3, v9, v8, s[2:3]
	v_lshl_add_u64 v[8:9], v[6:7], 0, 2
	v_cmp_ne_u32_e64 s[2:3], 0, v3
	s_nop 1
	v_cndmask_b32_e64 v3, v13, v9, s[2:3]
	v_cndmask_b32_e64 v9, 0, -1, vcc
	v_cmp_le_u32_e32 vcc, s24, v16
	s_nop 1
	v_cndmask_b32_e64 v13, 0, -1, vcc
	v_cmp_eq_u32_e32 vcc, s25, v1
	s_nop 1
	v_cndmask_b32_e32 v1, v9, v13, vcc
	v_cmp_ne_u32_e32 vcc, 0, v1
	v_cndmask_b32_e64 v1, v12, v8, s[2:3]
	s_nop 0
	v_cndmask_b32_e32 v7, v7, v3, vcc
	v_cndmask_b32_e32 v6, v6, v1, vcc
.LBB0_4:                                ;   in Loop: Header=BB0_2 Depth=1
	s_andn2_saveexec_b64 s[2:3], s[26:27]
	s_cbranch_execz .LBB0_6
; %bb.5:                                ;   in Loop: Header=BB0_2 Depth=1
	v_cvt_f32_u32_e32 v1, s24
	s_sub_i32 s26, 0, s24
	v_rcp_iflag_f32_e32 v1, v1
	s_nop 0
	v_mul_f32_e32 v1, 0x4f7ffffe, v1
	v_cvt_u32_f32_e32 v1, v1
	v_mul_lo_u32 v3, s26, v1
	v_mul_hi_u32 v3, v1, v3
	v_add_u32_e32 v1, v1, v3
	v_mul_hi_u32 v1, v4, v1
	v_mul_lo_u32 v3, v1, s24
	v_sub_u32_e32 v3, v4, v3
	v_add_u32_e32 v6, 1, v1
	v_subrev_u32_e32 v7, s24, v3
	v_cmp_le_u32_e32 vcc, s24, v3
	s_nop 1
	v_cndmask_b32_e32 v3, v3, v7, vcc
	v_cndmask_b32_e32 v1, v1, v6, vcc
	v_add_u32_e32 v6, 1, v1
	v_cmp_le_u32_e32 vcc, s24, v3
	v_mov_b32_e32 v7, v2
	s_nop 0
	v_cndmask_b32_e32 v6, v1, v6, vcc
.LBB0_6:                                ;   in Loop: Header=BB0_2 Depth=1
	s_or_b64 exec, exec, s[2:3]
	v_mad_u64_u32 v[8:9], s[2:3], v6, s24, 0
	s_load_dwordx2 s[2:3], s[18:19], 0x0
	v_mul_lo_u32 v1, v7, s24
	v_mul_lo_u32 v3, v6, s25
	s_load_dwordx2 s[24:25], s[16:17], 0x0
	s_add_u32 s22, s22, 1
	v_add3_u32 v1, v9, v3, v1
	v_sub_co_u32_e32 v3, vcc, v4, v8
	s_addc_u32 s23, s23, 0
	s_nop 0
	v_subb_co_u32_e32 v1, vcc, v5, v1, vcc
	s_add_u32 s16, s16, 8
	s_waitcnt lgkmcnt(0)
	v_mul_lo_u32 v4, s2, v1
	v_mul_lo_u32 v5, s3, v3
	v_mad_u64_u32 v[14:15], s[2:3], s2, v3, v[14:15]
	s_addc_u32 s17, s17, 0
	v_add3_u32 v15, v5, v15, v4
	v_mul_lo_u32 v1, s24, v1
	v_mul_lo_u32 v4, s25, v3
	v_mad_u64_u32 v[10:11], s[2:3], s24, v3, v[10:11]
	s_add_u32 s18, s18, 8
	v_add3_u32 v11, v4, v11, v1
	s_addc_u32 s19, s19, 0
	v_mov_b64_e32 v[4:5], s[10:11]
	s_add_u32 s20, s20, 8
	v_cmp_ge_u64_e32 vcc, s[22:23], v[4:5]
	s_addc_u32 s21, s21, 0
	s_cbranch_vccnz .LBB0_9
; %bb.7:                                ;   in Loop: Header=BB0_2 Depth=1
	v_mov_b64_e32 v[4:5], v[6:7]
	s_branch .LBB0_2
.LBB0_8:
	v_mov_b64_e32 v[10:11], v[14:15]
	v_mov_b64_e32 v[6:7], v[4:5]
.LBB0_9:
	s_load_dwordx2 s[0:1], s[0:1], 0x28
	s_lshl_b64 s[10:11], s[10:11], 3
	s_add_u32 s2, s14, s10
	s_addc_u32 s3, s15, s11
                                        ; implicit-def: $sgpr14_sgpr15
                                        ; implicit-def: $vgpr1
                                        ; implicit-def: $vgpr58
                                        ; implicit-def: $vgpr60
                                        ; implicit-def: $vgpr59
	s_waitcnt lgkmcnt(0)
	v_cmp_gt_u64_e32 vcc, s[0:1], v[6:7]
	v_cmp_le_u64_e64 s[0:1], s[0:1], v[6:7]
	s_and_saveexec_b64 s[16:17], s[0:1]
	s_xor_b64 s[0:1], exec, s[16:17]
; %bb.10:
	v_or_b32_e32 v1, 0x80, v0
	v_or_b32_e32 v58, 0x100, v0
	;; [unrolled: 1-line block ×4, first 2 shown]
	s_mov_b64 s[14:15], 0
                                        ; implicit-def: $vgpr14_vgpr15
; %bb.11:
	s_or_saveexec_b64 s[0:1], s[0:1]
	v_mov_b64_e32 v[8:9], s[14:15]
	v_mov_b64_e32 v[2:3], s[14:15]
	;; [unrolled: 1-line block ×10, first 2 shown]
                                        ; implicit-def: $vgpr4
                                        ; implicit-def: $vgpr21
                                        ; implicit-def: $vgpr40
                                        ; implicit-def: $vgpr51
                                        ; implicit-def: $vgpr34
                                        ; implicit-def: $vgpr47
                                        ; implicit-def: $vgpr26
                                        ; implicit-def: $vgpr39
                                        ; implicit-def: $vgpr22
                                        ; implicit-def: $vgpr31
                                        ; implicit-def: $vgpr23
                                        ; implicit-def: $vgpr57
                                        ; implicit-def: $vgpr27
                                        ; implicit-def: $vgpr55
                                        ; implicit-def: $vgpr35
                                        ; implicit-def: $vgpr53
                                        ; implicit-def: $vgpr41
                                        ; implicit-def: $vgpr49
                                        ; implicit-def: $vgpr5
                                        ; implicit-def: $vgpr45
	s_xor_b64 exec, exec, s[0:1]
	s_cbranch_execz .LBB0_13
; %bb.12:
	s_add_u32 s10, s12, s10
	s_addc_u32 s11, s13, s11
	s_load_dwordx2 s[10:11], s[10:11], 0x0
	v_lshlrev_b32_e32 v8, 3, v0
	v_mov_b32_e32 v9, 0
	v_or_b32_e32 v59, 0x200, v0
	v_or_b32_e32 v58, 0x100, v0
	s_waitcnt lgkmcnt(0)
	v_mul_lo_u32 v1, s11, v6
	v_mul_lo_u32 v4, s10, v7
	v_mad_u64_u32 v[2:3], s[10:11], s10, v6, 0
	v_add3_u32 v3, v3, v4, v1
	v_lshl_add_u64 v[2:3], v[2:3], 3, s[4:5]
	v_lshl_add_u64 v[14:15], v[14:15], 3, v[2:3]
	v_or_b32_e32 v2, 0x1400, v8
	v_mov_b32_e32 v3, v9
	v_lshl_add_u64 v[12:13], v[14:15], 0, v[2:3]
	v_or_b32_e32 v2, 0x2800, v8
	v_lshl_add_u64 v[16:17], v[14:15], 0, v[2:3]
	v_or_b32_e32 v2, 0x3c00, v8
	;; [unrolled: 2-line block ×3, first 2 shown]
	v_lshl_add_u64 v[22:23], v[14:15], 0, v[2:3]
	global_load_dwordx2 v[2:3], v[12:13], off
	global_load_dwordx2 v[4:5], v[16:17], off
	;; [unrolled: 1-line block ×4, first 2 shown]
	v_or_b32_e32 v12, 0x2c00, v8
	v_mov_b32_e32 v13, v9
	v_or_b32_e32 v18, 0x1c00, v8
	v_mov_b32_e32 v19, v9
	v_lshl_add_u64 v[12:13], v[14:15], 0, v[12:13]
	v_or_b32_e32 v16, 0x4000, v8
	v_mov_b32_e32 v17, v9
	v_lshl_add_u64 v[18:19], v[14:15], 0, v[18:19]
	v_or_b32_e32 v22, 0x3000, v8
	v_mov_b32_e32 v23, v9
	v_lshl_add_u64 v[16:17], v[14:15], 0, v[16:17]
	v_lshl_add_u64 v[22:23], v[14:15], 0, v[22:23]
	global_load_dwordx2 v[40:41], v[12:13], off
	global_load_dwordx2 v[48:49], v[16:17], off
	;; [unrolled: 1-line block ×4, first 2 shown]
	v_or_b32_e32 v12, 0x4400, v8
	v_mov_b32_e32 v13, v9
	v_or_b32_e32 v18, 0x3400, v8
	v_mov_b32_e32 v19, v9
	v_lshl_add_u64 v[12:13], v[14:15], 0, v[12:13]
	v_or_b32_e32 v16, 0x2000, v8
	v_mov_b32_e32 v17, v9
	v_lshl_add_u64 v[22:23], v[14:15], 0, v[18:19]
	v_or_b32_e32 v18, 0x4800, v8
	v_lshl_add_u64 v[16:17], v[14:15], 0, v[16:17]
	v_lshl_add_u64 v[28:29], v[14:15], 0, v[18:19]
	global_load_dwordx2 v[52:53], v[12:13], off
	global_load_dwordx2 v[18:19], v[16:17], off
	;; [unrolled: 1-line block ×4, first 2 shown]
	v_lshlrev_b32_e32 v12, 3, v59
	v_mov_b32_e32 v13, v9
	v_lshl_add_u64 v[28:29], v[14:15], 0, v[12:13]
	v_or_b32_e32 v12, 0x2400, v8
	v_lshl_add_u64 v[30:31], v[14:15], 0, v[12:13]
	v_or_b32_e32 v12, 0x3800, v8
	v_lshl_add_u64 v[36:37], v[14:15], 0, v[12:13]
	global_load_dwordx2 v[12:13], v[28:29], off
	global_load_dwordx2 v[16:17], v[30:31], off
	;; [unrolled: 1-line block ×3, first 2 shown]
	v_lshl_add_u64 v[20:21], v[14:15], 0, v[8:9]
	v_or_b32_e32 v8, 0x4c00, v8
	v_lshl_add_u64 v[14:15], v[14:15], 0, v[8:9]
	global_load_dwordx2 v[56:57], v[14:15], off
	global_load_dwordx2 v[8:9], v[20:21], off
	global_load_dwordx2 v[42:43], v[20:21], off offset:1024
	global_load_dwordx2 v[36:37], v[20:21], off offset:2048
	;; [unrolled: 1-line block ×3, first 2 shown]
	v_or_b32_e32 v1, 0x80, v0
	v_or_b32_e32 v60, 0x180, v0
	s_waitcnt vmcnt(18)
	v_mov_b32_e32 v21, v5
	s_waitcnt vmcnt(17)
	v_mov_b32_e32 v5, v44
	;; [unrolled: 2-line block ×10, first 2 shown]
.LBB0_13:
	s_or_b64 exec, exec, s[0:1]
	v_sub_f32_e32 v50, v33, v49
	s_waitcnt vmcnt(2)
	v_sub_f32_e32 v49, v42, v40
	v_fma_f32 v48, v42, 2.0, -v49
	v_add_f32_e32 v42, v33, v33
	v_add_f32_e32 v44, v43, v43
	v_pk_add_f32 v[42:43], v[42:43], v[50:51] neg_lo:[0,1] neg_hi:[0,1]
	v_sub_f32_e32 v20, v3, v45
	v_mov_b32_e32 v45, v32
	v_mov_b32_e32 v40, v43
	v_pk_add_f32 v[40:41], v[44:45], v[40:41] neg_lo:[0,1] neg_hi:[0,1]
	v_mov_b32_e32 v45, v50
	v_fma_f32 v44, v32, 2.0, -v41
	v_pk_add_f32 v[44:45], v[48:49], v[44:45] neg_lo:[0,1] neg_hi:[0,1]
	v_lshl_add_u32 v33, v1, 4, 0
	v_pk_fma_f32 v[48:49], v[48:49], 2.0, v[44:45] op_sel_hi:[1,0,1] neg_lo:[0,0,1] neg_hi:[0,0,1]
	v_sub_f32_e32 v46, v25, v53
	ds_write2_b64 v33, v[48:49], v[44:45] offset1:1
	v_add_f32_e32 v44, v25, v25
	s_waitcnt vmcnt(1)
	v_mov_b32_e32 v45, v37
	v_sub_f32_e32 v30, v17, v57
	v_pk_add_f32 v[56:57], v[44:45], v[46:47] neg_lo:[0,1] neg_hi:[0,1]
	v_add_f32_e32 v50, v37, v37
	v_sub_f32_e32 v37, v36, v34
	v_mov_b32_e32 v51, v24
	v_mov_b32_e32 v34, v57
	v_pk_add_f32 v[50:51], v[50:51], v[34:35] neg_lo:[0,1] neg_hi:[0,1]
	v_fma_f32 v36, v36, 2.0, -v37
	v_fma_f32 v24, v24, 2.0, -v51
	v_mov_b32_e32 v25, v46
	v_pk_add_f32 v[24:25], v[36:37], v[24:25] neg_lo:[0,1] neg_hi:[0,1]
	v_lshl_add_u32 v44, v58, 4, 0
	v_pk_fma_f32 v[34:35], v[36:37], 2.0, v[24:25] op_sel_hi:[1,0,1] neg_lo:[0,0,1] neg_hi:[0,0,1]
	v_sub_f32_e32 v38, v19, v55
	v_add_f32_e32 v54, v19, v19
	ds_write2_b64 v44, v[34:35], v[24:25] offset1:1
	v_pk_add_f32 v[24:25], v[40:41], v[42:43] neg_lo:[0,1] neg_hi:[0,1]
	v_pk_add_f32 v[36:37], v[40:41], v[42:43]
	v_mov_b32_e32 v41, v43
	v_add_f32_e32 v42, v17, v17
	s_waitcnt vmcnt(0)
	v_mov_b32_e32 v55, v29
	v_mov_b32_e32 v43, v13
	v_pk_add_f32 v[54:55], v[54:55], v[38:39] neg_lo:[0,1] neg_hi:[0,1]
	v_pk_add_f32 v[42:43], v[42:43], v[30:31] neg_lo:[0,1] neg_hi:[0,1]
	v_add_f32_e32 v48, v29, v29
	v_add_f32_e32 v62, v13, v13
	v_sub_f32_e32 v29, v28, v26
	v_mov_b32_e32 v49, v18
	v_mov_b32_e32 v26, v55
	;; [unrolled: 1-line block ×3, first 2 shown]
	v_sub_f32_e32 v13, v12, v22
	v_mov_b32_e32 v22, v43
	v_pk_add_f32 v[48:49], v[48:49], v[26:27] neg_lo:[0,1] neg_hi:[0,1]
	v_pk_add_f32 v[22:23], v[62:63], v[22:23] neg_lo:[0,1] neg_hi:[0,1]
	v_fma_f32 v28, v28, 2.0, -v29
	v_fma_f32 v18, v18, 2.0, -v49
	v_mov_b32_e32 v19, v38
	v_fma_f32 v12, v12, 2.0, -v13
	v_fma_f32 v16, v16, 2.0, -v23
	v_mov_b32_e32 v17, v30
	v_pk_add_f32 v[18:19], v[28:29], v[18:19] neg_lo:[0,1] neg_hi:[0,1]
	v_pk_add_f32 v[16:17], v[12:13], v[16:17] neg_lo:[0,1] neg_hi:[0,1]
	v_add_f32_e32 v52, v3, v3
	v_lshl_add_u32 v45, v60, 4, 0
	v_lshl_add_u32 v47, v59, 4, 0
	v_pk_fma_f32 v[28:29], v[28:29], 2.0, v[18:19] op_sel_hi:[1,0,1] neg_lo:[0,0,1] neg_hi:[0,0,1]
	v_pk_fma_f32 v[12:13], v[12:13], 2.0, v[16:17] op_sel_hi:[1,0,1] neg_lo:[0,0,1] neg_hi:[0,0,1]
	v_mov_b32_e32 v53, v9
	ds_write2_b64 v45, v[28:29], v[18:19] offset1:1
	ds_write2_b64 v47, v[12:13], v[16:17] offset1:1
	v_pk_add_f32 v[12:13], v[52:53], v[20:21] neg_lo:[0,1] neg_hi:[0,1]
	v_add_f32_e32 v14, v9, v9
	v_mov_b32_e32 v15, v2
	v_sub_f32_e32 v9, v8, v4
	v_mov_b32_e32 v4, v13
	v_pk_add_f32 v[4:5], v[14:15], v[4:5] neg_lo:[0,1] neg_hi:[0,1]
	v_fma_f32 v8, v8, 2.0, -v9
	v_fma_f32 v2, v2, 2.0, -v5
	v_mov_b32_e32 v3, v20
	v_pk_add_f32 v[14:15], v[4:5], v[12:13] neg_lo:[0,1] neg_hi:[0,1]
	v_pk_add_f32 v[16:17], v[4:5], v[12:13]
	v_lshl_add_u32 v32, v0, 4, 0
	v_pk_add_f32 v[18:19], v[50:51], v[56:57] neg_lo:[0,1] neg_hi:[0,1]
	v_pk_add_f32 v[28:29], v[50:51], v[56:57]
	v_pk_add_f32 v[2:3], v[8:9], v[2:3] neg_lo:[0,1] neg_hi:[0,1]
	v_mov_b32_e32 v15, v17
	v_mov_b32_e32 v5, v13
	v_mad_i32_i24 v46, v0, -12, v32
	v_mov_b32_e32 v51, v57
	v_mov_b32_e32 v25, v37
	;; [unrolled: 1-line block ×3, first 2 shown]
	v_pk_fma_f32 v[8:9], v[8:9], 2.0, v[2:3] op_sel_hi:[1,0,1] neg_lo:[0,0,1] neg_hi:[0,0,1]
	v_pk_fma_f32 v[4:5], v[4:5], 2.0, v[14:15] op_sel_hi:[1,0,1] neg_lo:[0,0,1] neg_hi:[0,0,1]
	s_load_dwordx2 s[0:1], s[2:3], 0x0
	v_mad_i32_i24 v26, v1, -12, v33
	v_mad_i32_i24 v27, v58, -12, v44
	;; [unrolled: 1-line block ×4, first 2 shown]
	v_pk_fma_f32 v[38:39], v[40:41], 2.0, v[24:25] op_sel_hi:[1,0,1] neg_lo:[0,0,1] neg_hi:[0,0,1]
	v_pk_fma_f32 v[40:41], v[50:51], 2.0, v[18:19] op_sel_hi:[1,0,1] neg_lo:[0,0,1] neg_hi:[0,0,1]
	ds_write2_b64 v32, v[8:9], v[2:3] offset1:1
	s_waitcnt lgkmcnt(0)
	s_barrier
	ds_read2st64_b32 v[2:3], v46 offset1:10
	ds_read2st64_b32 v[8:9], v46 offset0:20 offset1:22
	ds_read2st64_b32 v[20:21], v46 offset0:28 offset1:30
	;; [unrolled: 1-line block ×7, first 2 shown]
	ds_read_b32 v61, v26
	ds_read_b32 v64, v27
	;; [unrolled: 1-line block ×4, first 2 shown]
	s_waitcnt lgkmcnt(0)
	s_barrier
	ds_write2_b64 v32, v[4:5], v[14:15] offset1:1
	v_pk_add_f32 v[4:5], v[48:49], v[54:55] neg_lo:[0,1] neg_hi:[0,1]
	v_pk_add_f32 v[12:13], v[48:49], v[54:55]
	v_mov_b32_e32 v49, v55
	v_mov_b32_e32 v5, v13
	v_pk_fma_f32 v[14:15], v[48:49], 2.0, v[4:5] op_sel_hi:[1,0,1] neg_lo:[0,0,1] neg_hi:[0,0,1]
	v_pk_add_f32 v[16:17], v[22:23], v[42:43] neg_lo:[0,1] neg_hi:[0,1]
	v_pk_add_f32 v[48:49], v[22:23], v[42:43]
	v_mov_b32_e32 v23, v43
	v_mov_b32_e32 v17, v49
	v_and_b32_e32 v32, 3, v0
	v_pk_fma_f32 v[22:23], v[22:23], 2.0, v[16:17] op_sel_hi:[1,0,1] neg_lo:[0,0,1] neg_hi:[0,0,1]
	ds_write2_b64 v33, v[38:39], v[24:25] offset1:1
	ds_write2_b64 v44, v[40:41], v[18:19] offset1:1
	;; [unrolled: 1-line block ×4, first 2 shown]
	v_mul_u32_u24_e32 v4, 3, v32
	v_lshlrev_b32_e32 v16, 3, v4
	s_waitcnt lgkmcnt(0)
	s_barrier
	global_load_dwordx4 v[12:15], v16, s[8:9]
	global_load_dwordx2 v[4:5], v16, s[8:9] offset:16
	ds_read2st64_b32 v[18:19], v46 offset1:10
	ds_read2st64_b32 v[22:23], v46 offset0:20 offset1:22
	ds_read2st64_b32 v[24:25], v46 offset0:28 offset1:30
	;; [unrolled: 1-line block ×5, first 2 shown]
	v_lshlrev_b32_e32 v17, 2, v0
	s_movk_i32 s2, 0x1f0
	v_lshlrev_b32_e32 v16, 2, v1
	s_mov_b32 s5, 0x3f737871
	s_mov_b32 s4, 0xbf737871
	;; [unrolled: 1-line block ×3, first 2 shown]
	s_waitcnt vmcnt(1) lgkmcnt(5)
	v_mul_f32_e32 v40, v19, v13
	v_fma_f32 v40, v3, v12, -v40
	v_mul_f32_e32 v3, v3, v13
	v_fmac_f32_e32 v3, v19, v12
	s_waitcnt lgkmcnt(4)
	v_mul_f32_e32 v19, v22, v15
	v_fma_f32 v19, v8, v14, -v19
	v_mul_f32_e32 v41, v8, v15
	v_mul_f32_e32 v8, v23, v15
	v_fmac_f32_e32 v41, v22, v14
	v_fma_f32 v22, v9, v14, -v8
	v_mul_f32_e32 v42, v9, v15
	s_waitcnt lgkmcnt(2)
	v_mul_f32_e32 v8, v28, v13
	v_fma_f32 v43, v30, v12, -v8
	v_fmac_f32_e32 v42, v23, v14
	v_mul_f32_e32 v23, v30, v13
	v_mul_f32_e32 v8, v29, v13
	v_fmac_f32_e32 v23, v28, v12
	v_fma_f32 v28, v31, v12, -v8
	v_mul_f32_e32 v48, v31, v13
	s_waitcnt lgkmcnt(1)
	v_mul_f32_e32 v8, v36, v15
	v_fmac_f32_e32 v48, v29, v12
	v_fma_f32 v29, v52, v14, -v8
	v_mul_f32_e32 v8, v37, v15
	v_fma_f32 v30, v53, v14, -v8
	s_waitcnt lgkmcnt(0)
	v_mul_f32_e32 v8, v38, v13
	v_mul_f32_e32 v49, v52, v15
	;; [unrolled: 1-line block ×3, first 2 shown]
	v_fma_f32 v31, v56, v12, -v8
	v_mul_f32_e32 v53, v56, v13
	v_mul_f32_e32 v8, v39, v13
	v_fmac_f32_e32 v49, v36, v14
	v_fmac_f32_e32 v53, v38, v12
	v_fma_f32 v36, v57, v12, -v8
	v_mul_f32_e32 v38, v57, v13
	v_mul_f32_e32 v8, v24, v15
	v_fmac_f32_e32 v52, v37, v14
	v_fmac_f32_e32 v38, v39, v12
	v_fma_f32 v37, v20, v14, -v8
	ds_read2st64_b32 v[8:9], v46 offset0:32 offset1:34
	ds_read2st64_b32 v[12:13], v46 offset0:36 offset1:38
	v_mul_f32_e32 v39, v20, v15
	v_fmac_f32_e32 v39, v24, v14
	s_waitcnt vmcnt(0)
	v_mul_f32_e32 v14, v25, v5
	v_mul_f32_e32 v15, v21, v5
	s_waitcnt lgkmcnt(1)
	v_mul_f32_e32 v20, v8, v5
	v_fma_f32 v14, v21, v4, -v14
	v_fmac_f32_e32 v15, v25, v4
	v_fma_f32 v21, v50, v4, -v20
	v_mul_f32_e32 v24, v50, v5
	v_mul_f32_e32 v25, v51, v5
	;; [unrolled: 1-line block ×3, first 2 shown]
	v_fmac_f32_e32 v24, v8, v4
	v_mul_f32_e32 v8, v9, v5
	v_fmac_f32_e32 v25, v9, v4
	s_waitcnt lgkmcnt(0)
	v_mul_f32_e32 v9, v12, v5
	v_fmac_f32_e32 v50, v12, v4
	v_mul_f32_e32 v12, v13, v5
	v_mul_f32_e32 v5, v63, v5
	v_fma_f32 v8, v51, v4, -v8
	v_fma_f32 v9, v62, v4, -v9
	v_fma_f32 v12, v63, v4, -v12
	v_fmac_f32_e32 v5, v13, v4
	v_sub_f32_e32 v4, v2, v19
	v_sub_f32_e32 v13, v40, v14
	v_fma_f32 v2, v2, 2.0, -v4
	v_sub_f32_e32 v14, v3, v15
	v_fma_f32 v15, v40, 2.0, -v13
	v_sub_f32_e32 v15, v2, v15
	v_sub_f32_e32 v40, v4, v14
	v_and_or_b32 v19, v17, s2, v32
	v_fma_f32 v2, v2, 2.0, -v15
	v_fma_f32 v4, v4, 2.0, -v40
	v_lshl_add_u32 v57, v19, 2, 0
	ds_read_b32 v51, v26
	ds_read_b32 v54, v27
	;; [unrolled: 1-line block ×4, first 2 shown]
	s_waitcnt lgkmcnt(0)
	s_barrier
	ds_write2_b32 v57, v2, v4 offset1:4
	v_sub_f32_e32 v2, v18, v41
	v_fma_f32 v4, v18, 2.0, -v2
	v_fma_f32 v3, v3, 2.0, -v14
	v_add_f32_e32 v63, v2, v13
	v_sub_f32_e32 v41, v4, v3
	v_fma_f32 v67, v2, 2.0, -v63
	v_sub_f32_e32 v2, v61, v22
	v_sub_f32_e32 v21, v43, v21
	v_fma_f32 v62, v4, 2.0, -v41
	v_fma_f32 v3, v61, 2.0, -v2
	v_sub_f32_e32 v22, v23, v24
	v_fma_f32 v4, v43, 2.0, -v21
	v_sub_f32_e32 v43, v28, v8
	s_movk_i32 s2, 0x3f0
	v_sub_f32_e32 v4, v3, v4
	v_sub_f32_e32 v13, v2, v22
	v_fma_f32 v8, v28, 2.0, -v43
	v_sub_f32_e32 v28, v65, v30
	v_and_or_b32 v30, v16, s2, v32
	v_fma_f32 v3, v3, 2.0, -v4
	v_fma_f32 v2, v2, 2.0, -v13
	v_sub_f32_e32 v14, v64, v29
	v_sub_f32_e32 v50, v53, v50
	v_lshl_add_u32 v61, v30, 2, 0
	v_lshlrev_b32_e32 v20, 2, v58
	v_fma_f32 v24, v64, 2.0, -v14
	v_sub_f32_e32 v25, v48, v25
	ds_write2_b32 v57, v15, v40 offset0:8 offset1:12
	v_sub_f32_e32 v40, v31, v9
	ds_write2_b32 v61, v3, v2 offset1:4
	v_sub_f32_e32 v2, v28, v50
	s_movk_i32 s2, 0x5f0
	v_lshlrev_b32_e32 v19, 2, v60
	v_sub_f32_e32 v8, v24, v8
	v_sub_f32_e32 v15, v14, v25
	v_fma_f32 v29, v65, 2.0, -v28
	v_fma_f32 v9, v31, 2.0, -v40
	;; [unrolled: 1-line block ×3, first 2 shown]
	v_sub_f32_e32 v28, v66, v37
	v_sub_f32_e32 v64, v36, v12
	ds_write2_b32 v61, v4, v13 offset0:8 offset1:12
	v_and_or_b32 v4, v20, s2, v32
	s_movk_i32 s2, 0x7f0
	v_fma_f32 v24, v24, 2.0, -v8
	v_fma_f32 v14, v14, 2.0, -v15
	v_sub_f32_e32 v9, v29, v9
	v_fma_f32 v30, v66, 2.0, -v28
	v_sub_f32_e32 v65, v38, v5
	v_fma_f32 v5, v36, 2.0, -v64
	v_lshl_add_u32 v66, v4, 2, 0
	v_and_or_b32 v4, v19, s2, v32
	v_lshlrev_b32_e32 v18, 2, v59
	v_fma_f32 v29, v29, 2.0, -v9
	v_sub_f32_e32 v5, v30, v5
	ds_write2_b32 v66, v24, v14 offset1:4
	ds_write2_b32 v66, v8, v15 offset0:8 offset1:12
	v_lshl_add_u32 v24, v4, 2, 0
	s_movk_i32 s2, 0x9f0
	v_fma_f32 v12, v30, 2.0, -v5
	v_sub_f32_e32 v30, v28, v65
	ds_write2_b32 v24, v29, v3 offset1:4
	ds_write2_b32 v24, v9, v2 offset0:8 offset1:12
	v_and_or_b32 v2, v18, s2, v32
	v_fma_f32 v28, v28, 2.0, -v30
	v_lshl_add_u32 v32, v2, 2, 0
	ds_write2_b32 v32, v12, v28 offset1:4
	ds_write2_b32 v32, v5, v30 offset0:8 offset1:12
	s_waitcnt lgkmcnt(0)
	s_barrier
	ds_read2st64_b32 v[2:3], v46 offset1:10
	ds_read2st64_b32 v[28:29], v46 offset0:20 offset1:22
	ds_read2st64_b32 v[8:9], v46 offset0:28 offset1:30
	;; [unrolled: 1-line block ×3, first 2 shown]
	ds_read_b32 v68, v26
	ds_read_b32 v69, v27
	;; [unrolled: 1-line block ×4, first 2 shown]
	ds_read2st64_b32 v[12:13], v46 offset0:32 offset1:34
	ds_read2st64_b32 v[30:31], v46 offset0:24 offset1:26
	;; [unrolled: 1-line block ×4, first 2 shown]
	s_waitcnt lgkmcnt(0)
	s_barrier
	ds_write2_b32 v57, v62, v67 offset1:4
	ds_write2_b32 v57, v41, v63 offset0:8 offset1:12
	v_sub_f32_e32 v41, v51, v42
	v_fma_f32 v22, v23, 2.0, -v22
	v_fma_f32 v23, v48, 2.0, -v25
	;; [unrolled: 1-line block ×4, first 2 shown]
	v_sub_f32_e32 v48, v54, v49
	v_sub_f32_e32 v50, v55, v52
	;; [unrolled: 1-line block ×4, first 2 shown]
	v_add_f32_e32 v21, v41, v21
	v_fma_f32 v49, v54, 2.0, -v48
	v_fma_f32 v51, v55, 2.0, -v50
	;; [unrolled: 1-line block ×6, first 2 shown]
	v_sub_f32_e32 v23, v49, v23
	v_add_f32_e32 v43, v48, v43
	v_sub_f32_e32 v25, v51, v25
	v_add_f32_e32 v40, v50, v40
	v_sub_f32_e32 v38, v52, v38
	v_add_f32_e32 v53, v39, v64
	v_fma_f32 v49, v49, 2.0, -v23
	v_fma_f32 v48, v48, 2.0, -v43
	;; [unrolled: 1-line block ×6, first 2 shown]
	ds_write2_b32 v61, v42, v41 offset1:4
	ds_write2_b32 v61, v22, v21 offset0:8 offset1:12
	ds_write2_b32 v66, v49, v48 offset1:4
	ds_write2_b32 v66, v23, v43 offset0:8 offset1:12
	;; [unrolled: 2-line block ×4, first 2 shown]
	v_and_b32_e32 v21, 15, v0
	v_mul_u32_u24_e32 v22, 3, v21
	v_lshlrev_b32_e32 v32, 3, v22
	s_waitcnt lgkmcnt(0)
	s_barrier
	global_load_dwordx4 v[22:25], v32, s[8:9] offset:96
	global_load_dwordx2 v[38:39], v32, s[8:9] offset:112
	ds_read2st64_b32 v[40:41], v46 offset1:10
	ds_read2st64_b32 v[42:43], v46 offset0:20 offset1:22
	ds_read2st64_b32 v[48:49], v46 offset0:28 offset1:30
	;; [unrolled: 1-line block ×5, first 2 shown]
	s_movk_i32 s2, 0x1c0
	v_and_or_b32 v17, v17, s2, v21
	v_lshl_add_u32 v66, v17, 2, 0
	s_movk_i32 s2, 0x3c0
	s_waitcnt vmcnt(1) lgkmcnt(4)
	v_mul_f32_e32 v32, v42, v25
	v_fma_f32 v32, v28, v24, -v32
	v_mul_f32_e32 v28, v28, v25
	v_fmac_f32_e32 v28, v42, v24
	v_mul_f32_e32 v42, v43, v25
	v_fma_f32 v42, v29, v24, -v42
	v_mul_f32_e32 v29, v29, v25
	s_waitcnt lgkmcnt(2)
	v_mul_f32_e32 v56, v50, v23
	v_fma_f32 v56, v14, v22, -v56
	v_fmac_f32_e32 v29, v43, v24
	v_mul_f32_e32 v43, v14, v23
	v_mul_f32_e32 v14, v51, v23
	v_fmac_f32_e32 v43, v50, v22
	v_fma_f32 v50, v15, v22, -v14
	v_mul_f32_e32 v57, v15, v23
	s_waitcnt lgkmcnt(1)
	v_mul_f32_e32 v14, v52, v25
	v_fmac_f32_e32 v57, v51, v22
	v_fma_f32 v51, v30, v24, -v14
	v_mul_f32_e32 v30, v30, v25
	v_mul_f32_e32 v14, v53, v25
	v_fmac_f32_e32 v30, v52, v24
	v_fma_f32 v52, v31, v24, -v14
	s_waitcnt lgkmcnt(0)
	v_mul_f32_e32 v14, v54, v23
	v_mul_f32_e32 v31, v31, v25
	v_fma_f32 v61, v36, v22, -v14
	v_mul_f32_e32 v14, v55, v23
	v_fmac_f32_e32 v31, v53, v24
	v_fma_f32 v53, v37, v22, -v14
	v_mul_f32_e32 v14, v41, v23
	v_mul_f32_e32 v36, v36, v23
	;; [unrolled: 1-line block ×3, first 2 shown]
	v_fma_f32 v62, v3, v22, -v14
	v_mul_f32_e32 v3, v3, v23
	v_mul_f32_e32 v14, v48, v25
	v_fmac_f32_e32 v36, v54, v22
	v_fmac_f32_e32 v37, v55, v22
	v_fmac_f32_e32 v3, v41, v22
	v_fma_f32 v22, v8, v24, -v14
	ds_read2st64_b32 v[14:15], v46 offset0:32 offset1:34
	v_mul_f32_e32 v23, v8, v25
	s_waitcnt vmcnt(0)
	v_mul_f32_e32 v8, v49, v39
	v_fmac_f32_e32 v23, v48, v24
	v_fma_f32 v24, v9, v38, -v8
	s_waitcnt lgkmcnt(0)
	v_mul_f32_e32 v8, v14, v39
	v_fma_f32 v41, v12, v38, -v8
	v_mul_f32_e32 v8, v15, v39
	v_mul_f32_e32 v25, v9, v39
	v_fma_f32 v48, v13, v38, -v8
	ds_read2st64_b32 v[8:9], v46 offset0:36 offset1:38
	v_mul_f32_e32 v13, v13, v39
	v_mul_f32_e32 v12, v12, v39
	v_fmac_f32_e32 v13, v15, v38
	v_fmac_f32_e32 v12, v14, v38
	s_waitcnt lgkmcnt(0)
	v_mul_f32_e32 v15, v9, v39
	v_mul_f32_e32 v14, v8, v39
	v_fma_f32 v15, v5, v38, -v15
	v_mul_f32_e32 v5, v5, v39
	v_fma_f32 v14, v4, v38, -v14
	v_mul_f32_e32 v4, v4, v39
	v_fmac_f32_e32 v5, v9, v38
	v_sub_f32_e32 v9, v40, v28
	v_fmac_f32_e32 v25, v49, v38
	v_fmac_f32_e32 v4, v8, v38
	v_sub_f32_e32 v8, v2, v32
	v_fma_f32 v28, v40, 2.0, -v9
	ds_read_b32 v32, v26
	ds_read_b32 v38, v27
	;; [unrolled: 1-line block ×4, first 2 shown]
	v_sub_f32_e32 v24, v62, v24
	v_sub_f32_e32 v25, v3, v25
	v_fma_f32 v2, v2, 2.0, -v8
	v_fma_f32 v49, v62, 2.0, -v24
	v_fma_f32 v3, v3, 2.0, -v25
	v_add_f32_e32 v24, v9, v24
	v_sub_f32_e32 v49, v2, v49
	v_sub_f32_e32 v54, v28, v3
	;; [unrolled: 1-line block ×3, first 2 shown]
	v_fma_f32 v25, v9, 2.0, -v24
	v_sub_f32_e32 v9, v68, v42
	v_sub_f32_e32 v41, v56, v41
	s_waitcnt lgkmcnt(2)
	v_sub_f32_e32 v30, v38, v30
	v_sub_f32_e32 v48, v50, v48
	v_fma_f32 v2, v2, 2.0, -v49
	v_fma_f32 v8, v8, 2.0, -v3
	;; [unrolled: 1-line block ×3, first 2 shown]
	v_sub_f32_e32 v12, v43, v12
	v_fma_f32 v55, v56, 2.0, -v41
	v_sub_f32_e32 v51, v69, v51
	v_fma_f32 v50, v50, 2.0, -v48
	v_add_f32_e32 v48, v30, v48
	v_fma_f32 v43, v43, 2.0, -v12
	v_sub_f32_e32 v55, v42, v55
	v_sub_f32_e32 v12, v9, v12
	v_fma_f32 v56, v69, 2.0, -v51
	v_fma_f32 v38, v38, 2.0, -v30
	v_sub_f32_e32 v13, v57, v13
	v_fma_f32 v62, v30, 2.0, -v48
	v_sub_f32_e32 v30, v70, v52
	s_waitcnt lgkmcnt(1)
	v_sub_f32_e32 v31, v39, v31
	v_sub_f32_e32 v14, v61, v14
	;; [unrolled: 1-line block ×3, first 2 shown]
	s_waitcnt lgkmcnt(0)
	s_barrier
	ds_write2_b32 v66, v2, v8 offset1:16
	ds_write2_b32 v66, v49, v3 offset0:32 offset1:48
	v_and_or_b32 v2, v16, s2, v21
	s_movk_i32 s2, 0x5c0
	v_fma_f32 v42, v42, 2.0, -v55
	v_fma_f32 v9, v9, 2.0, -v12
	;; [unrolled: 1-line block ×3, first 2 shown]
	v_sub_f32_e32 v50, v56, v50
	v_sub_f32_e32 v13, v51, v13
	v_fma_f32 v52, v70, 2.0, -v30
	v_fma_f32 v61, v61, 2.0, -v14
	;; [unrolled: 1-line block ×3, first 2 shown]
	v_sub_f32_e32 v4, v30, v4
	v_add_f32_e32 v63, v31, v14
	v_sub_f32_e32 v22, v71, v22
	v_sub_f32_e32 v23, v40, v23
	;; [unrolled: 1-line block ×3, first 2 shown]
	v_lshl_add_u32 v49, v2, 2, 0
	v_and_or_b32 v2, v20, s2, v21
	s_movk_i32 s2, 0x7c0
	v_sub_f32_e32 v29, v32, v29
	v_fma_f32 v56, v56, 2.0, -v50
	v_fma_f32 v51, v51, 2.0, -v13
	;; [unrolled: 1-line block ×3, first 2 shown]
	v_sub_f32_e32 v61, v52, v61
	v_fma_f32 v14, v30, 2.0, -v4
	v_fma_f32 v64, v31, 2.0, -v63
	;; [unrolled: 1-line block ×4, first 2 shown]
	v_sub_f32_e32 v5, v37, v5
	v_fma_f32 v40, v53, 2.0, -v15
	ds_write2_b32 v49, v42, v9 offset1:16
	ds_write2_b32 v49, v55, v12 offset0:32 offset1:48
	v_lshl_add_u32 v42, v2, 2, 0
	v_and_or_b32 v2, v19, s2, v21
	s_movk_i32 s2, 0x9c0
	v_fma_f32 v32, v32, 2.0, -v29
	v_fma_f32 v52, v52, 2.0, -v61
	;; [unrolled: 1-line block ×3, first 2 shown]
	v_sub_f32_e32 v40, v30, v40
	v_sub_f32_e32 v5, v22, v5
	v_add_f32_e32 v65, v23, v15
	ds_write2_b32 v42, v56, v51 offset1:16
	ds_write2_b32 v42, v50, v13 offset0:32 offset1:48
	v_lshl_add_u32 v50, v2, 2, 0
	v_and_or_b32 v2, v18, s2, v21
	v_fma_f32 v28, v28, 2.0, -v54
	v_sub_f32_e32 v43, v32, v43
	v_add_f32_e32 v41, v29, v41
	v_sub_f32_e32 v57, v38, v57
	v_sub_f32_e32 v36, v39, v36
	;; [unrolled: 1-line block ×3, first 2 shown]
	v_fma_f32 v30, v30, 2.0, -v40
	v_fma_f32 v15, v22, 2.0, -v5
	;; [unrolled: 1-line block ×3, first 2 shown]
	ds_write2_b32 v50, v52, v14 offset1:16
	ds_write2_b32 v50, v61, v4 offset0:32 offset1:48
	v_lshl_add_u32 v4, v2, 2, 0
	v_fma_f32 v32, v32, 2.0, -v43
	v_fma_f32 v29, v29, 2.0, -v41
	;; [unrolled: 1-line block ×5, first 2 shown]
	ds_write2_b32 v4, v30, v15 offset1:16
	ds_write2_b32 v4, v40, v5 offset0:32 offset1:48
	s_waitcnt lgkmcnt(0)
	s_barrier
	ds_read2st64_b32 v[2:3], v46 offset1:6
	ds_read2st64_b32 v[30:31], v46 offset0:10 offset1:12
	ds_read2st64_b32 v[20:21], v46 offset0:14 offset1:16
	;; [unrolled: 1-line block ×7, first 2 shown]
	ds_read_b32 v61, v35
	ds_read_b32 v67, v27
	;; [unrolled: 1-line block ×3, first 2 shown]
	ds_read_b32 v68, v46 offset:9728
	s_waitcnt lgkmcnt(0)
	s_barrier
	ds_write2_b32 v66, v28, v25 offset1:16
	ds_write2_b32 v66, v54, v24 offset0:32 offset1:48
	ds_write2_b32 v49, v32, v29 offset1:16
	ds_write2_b32 v49, v43, v41 offset0:32 offset1:48
	;; [unrolled: 2-line block ×5, first 2 shown]
	v_and_b32_e32 v22, 63, v0
	v_mul_u32_u24_e32 v4, 9, v22
	v_lshlrev_b32_e32 v4, 3, v4
	s_waitcnt lgkmcnt(0)
	s_barrier
	global_load_dwordx4 v[36:39], v4, s[8:9] offset:480
	global_load_dwordx4 v[48:51], v4, s[8:9] offset:496
	;; [unrolled: 1-line block ×4, first 2 shown]
	global_load_dwordx2 v[40:41], v4, s[8:9] offset:544
	ds_read_b32 v25, v27
	ds_read2st64_b32 v[4:5], v46 offset1:6
	ds_read_b32 v28, v35
	ds_read2st64_b32 v[56:57], v46 offset0:10 offset1:12
	ds_read_b32 v24, v26
	s_mov_b32 s2, 0x3f167918
	s_waitcnt vmcnt(4) lgkmcnt(4)
	v_mul_f32_e32 v29, v25, v37
	v_fma_f32 v66, v67, v36, -v29
	v_mul_f32_e32 v67, v67, v37
	v_fmac_f32_e32 v67, v25, v36
	s_waitcnt lgkmcnt(2)
	v_mul_f32_e32 v25, v28, v39
	v_fma_f32 v69, v61, v38, -v25
	v_mul_f32_e32 v61, v61, v39
	v_mul_f32_e32 v25, v5, v37
	v_fmac_f32_e32 v61, v28, v38
	v_fma_f32 v25, v3, v36, -v25
	v_mul_f32_e32 v28, v3, v37
	s_waitcnt lgkmcnt(1)
	v_mul_f32_e32 v3, v56, v39
	v_mul_f32_e32 v32, v30, v39
	v_fmac_f32_e32 v28, v5, v36
	v_fma_f32 v42, v30, v38, -v3
	v_fmac_f32_e32 v32, v56, v38
	ds_read2st64_b32 v[36:37], v46 offset0:14 offset1:16
	ds_read2st64_b32 v[38:39], v46 offset0:18 offset1:20
	s_waitcnt vmcnt(3)
	v_mul_f32_e32 v3, v57, v49
	v_fma_f32 v3, v31, v48, -v3
	v_mul_f32_e32 v5, v31, v49
	s_waitcnt lgkmcnt(1)
	v_mul_f32_e32 v29, v37, v51
	v_fma_f32 v31, v21, v50, -v29
	v_mul_f32_e32 v29, v36, v49
	v_mul_f32_e32 v21, v21, v51
	v_fma_f32 v29, v20, v48, -v29
	v_mul_f32_e32 v20, v20, v49
	v_fmac_f32_e32 v5, v57, v48
	v_fmac_f32_e32 v21, v37, v50
	;; [unrolled: 1-line block ×3, first 2 shown]
	ds_read2st64_b32 v[36:37], v46 offset0:22 offset1:24
	ds_read2st64_b32 v[48:49], v46 offset0:26 offset1:28
	s_waitcnt lgkmcnt(2)
	v_mul_f32_e32 v30, v38, v51
	v_fma_f32 v56, v18, v50, -v30
	v_mul_f32_e32 v43, v18, v51
	s_waitcnt vmcnt(2)
	v_mul_f32_e32 v18, v39, v53
	v_fmac_f32_e32 v43, v38, v50
	v_fma_f32 v38, v19, v52, -v18
	s_waitcnt lgkmcnt(1)
	v_mul_f32_e32 v18, v37, v55
	v_fma_f32 v51, v17, v54, -v18
	v_mul_f32_e32 v57, v17, v55
	v_mul_f32_e32 v17, v36, v53
	;; [unrolled: 1-line block ×3, first 2 shown]
	v_fma_f32 v30, v16, v52, -v17
	v_mul_f32_e32 v18, v16, v53
	s_waitcnt lgkmcnt(0)
	v_mul_f32_e32 v16, v48, v55
	v_fmac_f32_e32 v50, v39, v52
	v_fmac_f32_e32 v18, v36, v52
	v_fma_f32 v52, v14, v54, -v16
	ds_read2st64_b32 v[16:17], v46 offset0:30 offset1:32
	v_mul_f32_e32 v53, v14, v55
	s_waitcnt vmcnt(1)
	v_mul_f32_e32 v14, v49, v63
	v_fma_f32 v36, v15, v62, -v14
	v_fmac_f32_e32 v53, v48, v54
	s_waitcnt lgkmcnt(0)
	v_mul_f32_e32 v14, v17, v65
	v_fma_f32 v48, v13, v64, -v14
	v_mul_f32_e32 v14, v16, v63
	v_fmac_f32_e32 v57, v37, v54
	v_mul_f32_e32 v37, v15, v63
	v_fma_f32 v39, v12, v62, -v14
	ds_read2st64_b32 v[14:15], v46 offset0:34 offset1:36
	v_mul_f32_e32 v19, v12, v63
	v_fmac_f32_e32 v37, v49, v62
	v_mul_f32_e32 v54, v8, v65
	v_mul_f32_e32 v13, v13, v65
	s_waitcnt lgkmcnt(0)
	v_mul_f32_e32 v12, v14, v65
	v_fma_f32 v49, v8, v64, -v12
	ds_read_b32 v8, v46 offset:9728
	s_waitcnt vmcnt(0)
	v_mul_f32_e32 v12, v15, v41
	v_fmac_f32_e32 v54, v14, v64
	v_fma_f32 v12, v9, v40, -v12
	v_mul_f32_e32 v9, v9, v41
	s_waitcnt lgkmcnt(0)
	v_mul_f32_e32 v14, v8, v41
	v_mul_f32_e32 v41, v68, v41
	v_fmac_f32_e32 v41, v8, v40
	v_add_f32_e32 v8, v31, v51
	v_fmac_f32_e32 v13, v17, v64
	v_fmac_f32_e32 v9, v15, v40
	v_fma_f32 v55, v68, v40, -v14
	v_fma_f32 v15, -0.5, v8, v2
	v_sub_f32_e32 v8, v69, v31
	v_sub_f32_e32 v14, v48, v51
	v_add_f32_e32 v8, v8, v14
	v_sub_f32_e32 v14, v61, v13
	v_fmac_f32_e32 v19, v16, v62
	v_fmamk_f32 v16, v14, 0x3f737871, v15
	v_sub_f32_e32 v17, v21, v57
	v_fmac_f32_e32 v15, 0xbf737871, v14
	v_fmac_f32_e32 v16, 0x3f167918, v17
	v_fmac_f32_e32 v15, 0xbf167918, v17
	v_add_f32_e32 v40, v69, v48
	v_fmac_f32_e32 v16, 0x3e9e377a, v8
	v_fmac_f32_e32 v15, 0x3e9e377a, v8
	v_add_f32_e32 v8, v2, v69
	v_fmac_f32_e32 v2, -0.5, v40
	v_sub_f32_e32 v40, v31, v69
	v_sub_f32_e32 v62, v51, v48
	v_add_f32_e32 v40, v40, v62
	v_fmamk_f32 v62, v17, 0xbf737871, v2
	v_fmac_f32_e32 v2, 0x3f737871, v17
	v_fmac_f32_e32 v62, 0x3f167918, v14
	;; [unrolled: 1-line block ×5, first 2 shown]
	v_add_f32_e32 v8, v8, v31
	v_sub_f32_e32 v17, v31, v51
	v_sub_f32_e32 v31, v61, v21
	;; [unrolled: 1-line block ×3, first 2 shown]
	v_add_f32_e32 v8, v8, v51
	v_add_f32_e32 v31, v31, v40
	;; [unrolled: 1-line block ×4, first 2 shown]
	v_sub_f32_e32 v8, v69, v48
	v_fma_f32 v40, -0.5, v40, v4
	v_fmamk_f32 v48, v8, 0xbf737871, v40
	v_fmac_f32_e32 v40, 0x3f737871, v8
	v_fmac_f32_e32 v48, 0xbf167918, v17
	;; [unrolled: 1-line block ×5, first 2 shown]
	v_add_f32_e32 v31, v4, v61
	v_add_f32_e32 v51, v61, v13
	;; [unrolled: 1-line block ×3, first 2 shown]
	v_fmac_f32_e32 v4, -0.5, v51
	v_add_f32_e32 v31, v31, v57
	v_sub_f32_e32 v21, v21, v61
	v_add_f32_e32 v51, v31, v13
	v_sub_f32_e32 v13, v57, v13
	v_fmamk_f32 v57, v17, 0x3f737871, v4
	v_fmac_f32_e32 v4, 0xbf737871, v17
	v_add_f32_e32 v13, v21, v13
	v_fmac_f32_e32 v57, 0xbf167918, v8
	v_fmac_f32_e32 v4, 0x3f167918, v8
	v_add_f32_e32 v8, v38, v36
	v_fmac_f32_e32 v57, 0x3e9e377a, v13
	v_fmac_f32_e32 v4, 0x3e9e377a, v13
	v_fma_f32 v13, -0.5, v8, v66
	v_sub_f32_e32 v8, v3, v38
	v_sub_f32_e32 v17, v12, v36
	v_add_f32_e32 v8, v8, v17
	v_sub_f32_e32 v17, v5, v9
	v_fmamk_f32 v21, v17, 0x3f737871, v13
	v_sub_f32_e32 v31, v50, v37
	v_fmac_f32_e32 v13, 0xbf737871, v17
	v_fmac_f32_e32 v21, 0x3f167918, v31
	;; [unrolled: 1-line block ×5, first 2 shown]
	v_add_f32_e32 v8, v66, v3
	v_add_f32_e32 v61, v3, v12
	v_fmac_f32_e32 v66, -0.5, v61
	v_sub_f32_e32 v61, v38, v3
	v_sub_f32_e32 v63, v36, v12
	v_add_f32_e32 v8, v8, v38
	v_add_f32_e32 v61, v61, v63
	v_fmamk_f32 v63, v31, 0xbf737871, v66
	v_fmac_f32_e32 v66, 0x3f737871, v31
	v_add_f32_e32 v8, v8, v36
	v_fmac_f32_e32 v63, 0x3f167918, v17
	v_fmac_f32_e32 v66, 0xbf167918, v17
	v_add_f32_e32 v17, v8, v12
	v_sub_f32_e32 v3, v3, v12
	v_sub_f32_e32 v12, v5, v50
	v_sub_f32_e32 v31, v9, v37
	v_add_f32_e32 v12, v12, v31
	v_add_f32_e32 v31, v50, v37
	v_sub_f32_e32 v8, v38, v36
	v_fma_f32 v36, -0.5, v31, v67
	v_fmac_f32_e32 v63, 0x3e9e377a, v61
	v_fmac_f32_e32 v66, 0x3e9e377a, v61
	v_fmamk_f32 v61, v3, 0xbf737871, v36
	v_fmac_f32_e32 v36, 0x3f737871, v3
	v_fmac_f32_e32 v61, 0xbf167918, v8
	;; [unrolled: 1-line block ×5, first 2 shown]
	v_add_f32_e32 v12, v67, v5
	v_add_f32_e32 v12, v12, v50
	;; [unrolled: 1-line block ×4, first 2 shown]
	v_fmac_f32_e32 v67, -0.5, v31
	v_sub_f32_e32 v5, v50, v5
	v_add_f32_e32 v50, v12, v9
	v_sub_f32_e32 v9, v37, v9
	v_add_f32_e32 v5, v5, v9
	v_fmamk_f32 v9, v8, 0x3f737871, v67
	v_fmac_f32_e32 v67, 0xbf737871, v8
	v_fmac_f32_e32 v67, 0x3f167918, v3
	;; [unrolled: 1-line block ×4, first 2 shown]
	v_mul_f32_e32 v3, 0x3e9e377a, v66
	v_fma_f32 v3, v67, s5, -v3
	v_add_f32_e32 v38, v2, v3
	v_sub_f32_e32 v8, v2, v3
	v_mul_f32_e32 v37, 0xbf167918, v21
	v_mul_f32_e32 v2, 0x3e9e377a, v67
	v_fmac_f32_e32 v9, 0x3e9e377a, v5
	v_mul_f32_e32 v3, 0x3f167918, v61
	v_fmac_f32_e32 v37, 0x3f4f1bbd, v61
	v_mul_f32_e32 v61, 0xbf737871, v63
	v_fma_f32 v65, v66, s4, -v2
	v_mul_f32_e32 v2, 0x3f4f1bbd, v13
	v_fmac_f32_e32 v3, 0x3f4f1bbd, v21
	v_mul_f32_e32 v5, 0x3f737871, v9
	v_fmac_f32_e32 v61, 0x3e9e377a, v9
	v_fma_f32 v9, v36, s2, -v2
	v_mul_f32_e32 v2, 0x3f4f1bbd, v36
	v_add_f32_e32 v31, v14, v17
	v_add_f32_e32 v64, v16, v3
	v_fmac_f32_e32 v5, 0x3e9e377a, v63
	v_fma_f32 v66, v13, s3, -v2
	v_sub_f32_e32 v13, v14, v17
	v_sub_f32_e32 v14, v16, v3
	v_add_f32_e32 v3, v48, v37
	v_sub_f32_e32 v36, v48, v37
	v_add_f32_e32 v48, v56, v52
	v_add_f32_e32 v63, v62, v5
	v_add_f32_e32 v12, v15, v9
	v_add_f32_e32 v2, v51, v50
	v_sub_f32_e32 v16, v62, v5
	v_add_f32_e32 v5, v57, v61
	v_sub_f32_e32 v17, v15, v9
	v_sub_f32_e32 v15, v51, v50
	;; [unrolled: 1-line block ×3, first 2 shown]
	v_fma_f32 v50, -0.5, v48, v23
	v_sub_f32_e32 v48, v32, v54
	v_sub_f32_e32 v57, v42, v56
	;; [unrolled: 1-line block ×3, first 2 shown]
	v_fmamk_f32 v51, v48, 0x3f737871, v50
	v_add_f32_e32 v57, v57, v61
	v_sub_f32_e32 v61, v43, v53
	v_fmac_f32_e32 v50, 0xbf737871, v48
	v_fmac_f32_e32 v51, 0x3f167918, v61
	;; [unrolled: 1-line block ×3, first 2 shown]
	v_add_f32_e32 v62, v42, v49
	v_add_f32_e32 v9, v4, v65
	v_sub_f32_e32 v4, v4, v65
	v_fmac_f32_e32 v51, 0x3e9e377a, v57
	v_fmac_f32_e32 v50, 0x3e9e377a, v57
	v_add_f32_e32 v57, v23, v42
	v_fmac_f32_e32 v23, -0.5, v62
	v_sub_f32_e32 v62, v56, v42
	v_sub_f32_e32 v65, v52, v49
	v_add_f32_e32 v62, v62, v65
	v_fmamk_f32 v65, v61, 0xbf737871, v23
	v_fmac_f32_e32 v23, 0x3f737871, v61
	v_fmac_f32_e32 v65, 0x3f167918, v48
	;; [unrolled: 1-line block ×3, first 2 shown]
	v_add_f32_e32 v48, v57, v56
	v_add_f32_e32 v48, v48, v52
	;; [unrolled: 1-line block ×4, first 2 shown]
	v_fma_f32 v57, -0.5, v57, v24
	v_sub_f32_e32 v42, v42, v49
	v_sub_f32_e32 v49, v56, v52
	;; [unrolled: 1-line block ×4, first 2 shown]
	v_add_f32_e32 v52, v52, v56
	v_fmamk_f32 v56, v42, 0xbf737871, v57
	v_fmac_f32_e32 v57, 0x3f737871, v42
	v_fmac_f32_e32 v56, 0xbf167918, v49
	;; [unrolled: 1-line block ×5, first 2 shown]
	v_add_f32_e32 v52, v24, v32
	v_add_f32_e32 v61, v32, v54
	v_fmac_f32_e32 v24, -0.5, v61
	v_add_f32_e32 v52, v52, v43
	v_add_f32_e32 v52, v52, v53
	v_sub_f32_e32 v32, v43, v32
	v_fmamk_f32 v43, v49, 0x3f737871, v24
	v_sub_f32_e32 v53, v53, v54
	v_fmac_f32_e32 v24, 0xbf737871, v49
	v_fmac_f32_e32 v43, 0xbf167918, v42
	v_add_f32_e32 v32, v32, v53
	v_fmac_f32_e32 v24, 0x3f167918, v42
	v_fmac_f32_e32 v43, 0x3e9e377a, v32
	;; [unrolled: 1-line block ×3, first 2 shown]
	v_add_f32_e32 v32, v30, v39
	v_add_f32_e32 v52, v52, v54
	v_fma_f32 v32, -0.5, v32, v25
	v_sub_f32_e32 v42, v20, v41
	v_sub_f32_e32 v53, v29, v30
	;; [unrolled: 1-line block ×3, first 2 shown]
	v_fmamk_f32 v49, v42, 0x3f737871, v32
	v_add_f32_e32 v53, v53, v54
	v_sub_f32_e32 v54, v18, v19
	v_fmac_f32_e32 v32, 0xbf737871, v42
	v_fmac_f32_e32 v49, 0x3f167918, v54
	;; [unrolled: 1-line block ×3, first 2 shown]
	v_add_f32_e32 v61, v29, v55
	v_fmac_f32_e32 v65, 0x3e9e377a, v62
	v_fmac_f32_e32 v23, 0x3e9e377a, v62
	;; [unrolled: 1-line block ×4, first 2 shown]
	v_add_f32_e32 v53, v25, v29
	v_fmac_f32_e32 v25, -0.5, v61
	v_sub_f32_e32 v61, v30, v29
	v_sub_f32_e32 v62, v39, v55
	v_add_f32_e32 v61, v61, v62
	v_fmamk_f32 v62, v54, 0xbf737871, v25
	v_fmac_f32_e32 v25, 0x3f737871, v54
	v_fmac_f32_e32 v62, 0x3f167918, v42
	;; [unrolled: 1-line block ×3, first 2 shown]
	v_add_f32_e32 v42, v53, v30
	v_add_f32_e32 v53, v18, v19
	;; [unrolled: 1-line block ×3, first 2 shown]
	v_fma_f32 v53, -0.5, v53, v28
	v_sub_f32_e32 v29, v29, v55
	v_sub_f32_e32 v30, v30, v39
	;; [unrolled: 1-line block ×4, first 2 shown]
	v_add_f32_e32 v39, v39, v54
	v_fmamk_f32 v54, v29, 0xbf737871, v53
	v_fmac_f32_e32 v53, 0x3f737871, v29
	v_fmac_f32_e32 v54, 0xbf167918, v30
	;; [unrolled: 1-line block ×3, first 2 shown]
	v_add_f32_e32 v42, v42, v55
	v_fmac_f32_e32 v54, 0x3e9e377a, v39
	v_fmac_f32_e32 v53, 0x3e9e377a, v39
	v_add_f32_e32 v39, v28, v20
	v_add_f32_e32 v55, v20, v41
	v_fmac_f32_e32 v28, -0.5, v55
	v_add_f32_e32 v39, v39, v18
	v_add_f32_e32 v39, v39, v19
	v_sub_f32_e32 v18, v18, v20
	v_fmamk_f32 v55, v30, 0x3f737871, v28
	v_sub_f32_e32 v19, v19, v41
	v_fmac_f32_e32 v55, 0xbf167918, v29
	v_add_f32_e32 v18, v18, v19
	v_fmac_f32_e32 v28, 0xbf737871, v30
	v_fmac_f32_e32 v25, 0x3e9e377a, v61
	v_fmac_f32_e32 v55, 0x3e9e377a, v18
	v_fmac_f32_e32 v28, 0x3f167918, v29
	v_add_f32_e32 v21, v40, v66
	v_sub_f32_e32 v40, v40, v66
	v_fmac_f32_e32 v62, 0x3e9e377a, v61
	v_fmac_f32_e32 v28, 0x3e9e377a, v18
	v_mul_f32_e32 v61, 0x3f737871, v55
	v_mul_f32_e32 v66, 0xbf167918, v49
	;; [unrolled: 1-line block ×4, first 2 shown]
	v_fmac_f32_e32 v61, 0x3e9e377a, v62
	v_fmac_f32_e32 v66, 0x3f4f1bbd, v54
	v_fma_f32 v54, v28, s5, -v29
	v_mul_f32_e32 v62, 0xbf737871, v62
	v_mul_f32_e32 v28, 0x3e9e377a, v28
	v_fmac_f32_e32 v62, 0x3e9e377a, v55
	v_fma_f32 v55, v25, s4, -v28
	v_add_f32_e32 v18, v48, v42
	v_add_f32_e32 v20, v65, v61
	;; [unrolled: 1-line block ×3, first 2 shown]
	v_sub_f32_e32 v28, v48, v42
	v_sub_f32_e32 v42, v65, v61
	;; [unrolled: 1-line block ×3, first 2 shown]
	v_add_f32_e32 v23, v24, v55
	v_sub_f32_e32 v54, v24, v55
	v_lshrrev_b32_e32 v24, 6, v0
	v_mul_u32_u24_e32 v24, 0x280, v24
	v_add_f32_e32 v39, v39, v41
	v_fmac_f32_e32 v30, 0x3f4f1bbd, v49
	v_or_b32_e32 v24, v24, v22
	v_add_f32_e32 v19, v51, v30
	v_mul_f32_e32 v25, 0x3f4f1bbd, v32
	v_add_f32_e32 v41, v52, v39
	v_sub_f32_e32 v30, v51, v30
	v_add_f32_e32 v48, v56, v66
	v_sub_f32_e32 v51, v52, v39
	v_sub_f32_e32 v52, v56, v66
	v_lshl_add_u32 v56, v24, 2, 0
	v_fma_f32 v67, v53, s2, -v25
	s_barrier
	s_movk_i32 s2, 0x280
	ds_write2st64_b32 v56, v31, v64 offset1:1
	ds_write2st64_b32 v56, v63, v38 offset0:2 offset1:3
	ds_write2st64_b32 v56, v12, v13 offset0:4 offset1:5
	;; [unrolled: 1-line block ×4, first 2 shown]
	v_lshrrev_b32_e32 v8, 6, v1
	v_mul_lo_u32 v8, v8, s2
	v_mul_f32_e32 v25, 0x3f4f1bbd, v53
	v_or_b32_e32 v8, v8, v22
	v_fma_f32 v32, v32, s3, -v25
	v_add_f32_e32 v25, v50, v67
	v_lshl_add_u32 v8, v8, 2, 0
	v_add_f32_e32 v49, v43, v62
	v_sub_f32_e32 v65, v50, v67
	v_add_f32_e32 v50, v57, v32
	v_sub_f32_e32 v53, v43, v62
	v_sub_f32_e32 v55, v57, v32
	ds_write2st64_b32 v8, v18, v19 offset1:1
	ds_write2st64_b32 v8, v20, v29 offset0:2 offset1:3
	ds_write2st64_b32 v8, v25, v28 offset0:4 offset1:5
	;; [unrolled: 1-line block ×4, first 2 shown]
	s_waitcnt lgkmcnt(0)
	s_barrier
	ds_read2st64_b32 v[42:43], v46 offset1:10
	ds_read2st64_b32 v[38:39], v46 offset0:20 offset1:22
	ds_read2st64_b32 v[12:13], v46 offset0:28 offset1:30
	;; [unrolled: 1-line block ×7, first 2 shown]
	ds_read_b32 v32, v26
	ds_read_b32 v26, v27
	;; [unrolled: 1-line block ×4, first 2 shown]
	s_waitcnt lgkmcnt(0)
	s_barrier
	ds_write2st64_b32 v56, v2, v3 offset1:1
	ds_write2st64_b32 v56, v5, v9 offset0:2 offset1:3
	ds_write2st64_b32 v56, v21, v15 offset0:4 offset1:5
	;; [unrolled: 1-line block ×4, first 2 shown]
	ds_write2st64_b32 v8, v41, v48 offset1:1
	ds_write2st64_b32 v8, v49, v23 offset0:2 offset1:3
	ds_write2st64_b32 v8, v50, v51 offset0:4 offset1:5
	;; [unrolled: 1-line block ×4, first 2 shown]
	s_waitcnt lgkmcnt(0)
	s_barrier
	s_and_saveexec_b64 s[2:3], vcc
	s_cbranch_execz .LBB0_15
; %bb.14:
	v_mul_i32_i24_e32 v22, 3, v59
	v_mov_b32_e32 v23, 0
	v_lshl_add_u64 v[2:3], v[22:23], 3, s[8:9]
	v_mul_i32_i24_e32 v22, 3, v60
	v_lshl_add_u64 v[8:9], v[22:23], 3, s[8:9]
	v_mul_i32_i24_e32 v22, 3, v58
	v_lshl_add_u64 v[56:57], v[22:23], 3, s[8:9]
	v_mul_i32_i24_e32 v22, 3, v1
	v_mul_u32_u24_e32 v4, 3, v0
	v_lshl_add_u64 v[52:53], v[22:23], 3, s[8:9]
	v_lshlrev_b32_e32 v22, 3, v4
	s_movk_i32 s4, 0x1000
	v_lshl_add_u64 v[4:5], s[8:9], 0, v[22:23]
	v_add_co_u32_e32 v34, vcc, s4, v4
	s_mov_b64 s[2:3], 0x13e0
	s_nop 0
	v_addc_co_u32_e32 v35, vcc, 0, v5, vcc
	v_lshl_add_u64 v[4:5], v[4:5], 0, s[2:3]
	global_load_dwordx4 v[48:51], v[34:35], off offset:992
	global_load_dwordx2 v[64:65], v[4:5], off offset:16
	v_add_co_u32_e32 v40, vcc, s4, v2
	v_lshl_add_u64 v[36:37], v[2:3], 0, s[2:3]
	s_nop 0
	v_addc_co_u32_e32 v41, vcc, 0, v3, vcc
	v_add_co_u32_e32 v62, vcc, s4, v8
	v_mul_i32_i24_e32 v15, -12, v60
	s_nop 0
	v_addc_co_u32_e32 v63, vcc, 0, v9, vcc
	global_load_dwordx4 v[2:5], v[40:41], off offset:992
	global_load_dwordx2 v[34:35], v[36:37], off offset:16
	v_mul_lo_u32 v22, s1, v6
	v_mul_lo_u32 v27, s0, v7
	v_mad_u64_u32 v[60:61], s[0:1], s0, v6, 0
	ds_read2st64_b32 v[36:37], v46 offset0:28 offset1:30
	v_lshl_add_u64 v[54:55], v[8:9], 0, s[2:3]
	global_load_dwordx4 v[6:9], v[62:63], off offset:992
	global_load_dwordx2 v[40:41], v[54:55], off offset:16
	v_add_co_u32_e32 v62, vcc, s4, v52
	ds_read2st64_b32 v[66:67], v46 offset0:20 offset1:22
	ds_read2st64_b32 v[68:69], v46 offset1:10
	v_addc_co_u32_e32 v63, vcc, 0, v53, vcc
	v_lshl_add_u64 v[70:71], v[52:53], 0, s[2:3]
	global_load_dwordx4 v[52:55], v[62:63], off offset:992
	global_load_dwordx2 v[72:73], v[70:71], off offset:16
	v_mul_i32_i24_e32 v21, -12, v59
	v_add3_u32 v61, v61, v27, v22
	v_lshl_add_u64 v[80:81], v[56:57], 0, s[2:3]
	v_add_co_u32_e32 v56, vcc, s4, v56
	v_mov_b32_e32 v76, v13
	v_mov_b32_e32 v78, v13
	v_add_u32_e32 v13, v47, v21
	v_add_u32_e32 v21, v45, v15
	v_lshl_add_u64 v[60:61], v[60:61], 3, s[6:7]
	v_addc_co_u32_e32 v57, vcc, 0, v57, vcc
	ds_read_b32 v15, v13
	ds_read_b32 v21, v21
	v_lshl_add_u64 v[10:11], v[10:11], 3, v[60:61]
	global_load_dwordx4 v[60:63], v[56:57], off offset:992
	global_load_dwordx2 v[82:83], v[80:81], off offset:16
	s_mov_b32 s0, 0xcccccccd
	v_mov_b32_e32 v70, v43
	v_mov_b32_e32 v74, v43
	v_mul_hi_u32 v22, v0, s0
	s_waitcnt lgkmcnt(2)
	v_mov_b32_e32 v56, v69
	v_mov_b32_e32 v43, v68
	;; [unrolled: 1-line block ×3, first 2 shown]
	v_lshrrev_b32_e32 v13, 9, v22
	v_mul_u32_u24_e32 v13, 0x280, v13
	v_sub_u32_e32 v13, v0, v13
	v_lshlrev_b32_e32 v22, 3, v13
	s_movk_i32 s1, 0x2000
	v_mul_i32_i24_e32 v13, -12, v58
	v_add_u32_e32 v13, v44, v13
	ds_read_b32 v27, v13
	v_mul_i32_i24_e32 v1, -12, v1
	v_add_u32_e32 v1, v33, v1
	v_add_u32_e32 v13, 0x80, v0
	s_waitcnt vmcnt(9)
	v_pk_mul_f32 v[80:81], v[50:51], v[66:67] op_sel_hi:[1,0]
	v_pk_mul_f32 v[56:57], v[48:49], v[56:57] op_sel_hi:[1,0]
	s_waitcnt vmcnt(8)
	v_pk_mul_f32 v[68:69], v[64:65], v[68:69] op_sel_hi:[1,0]
	v_pk_fma_f32 v[70:71], v[70:71], v[48:49], v[56:57] op_sel:[0,0,1] op_sel_hi:[1,1,0] neg_lo:[0,0,1] neg_hi:[0,0,1]
	v_pk_fma_f32 v[48:49], v[74:75], v[48:49], v[56:57] op_sel:[0,0,1] op_sel_hi:[0,1,0]
	v_pk_fma_f32 v[56:57], v[38:39], v[50:51], v[80:81] op_sel:[0,0,1] op_sel_hi:[1,1,0] neg_lo:[0,0,1] neg_hi:[0,0,1]
	v_pk_fma_f32 v[50:51], v[38:39], v[50:51], v[80:81] op_sel:[0,0,1] op_sel_hi:[0,1,0]
	;; [unrolled: 2-line block ×3, first 2 shown]
	v_mov_b32_e32 v57, v51
	v_mov_b32_e32 v71, v49
	;; [unrolled: 1-line block ×3, first 2 shown]
	v_pk_add_f32 v[48:49], v[42:43], v[56:57] neg_lo:[0,1] neg_hi:[0,1]
	v_pk_add_f32 v[50:51], v[70:71], v[74:75] neg_lo:[0,1] neg_hi:[0,1]
	v_lshl_add_u64 v[68:69], v[10:11], 0, v[22:23]
	v_pk_add_f32 v[56:57], v[48:49], v[50:51] op_sel:[0,1] op_sel_hi:[1,0] neg_lo:[0,1] neg_hi:[0,1]
	v_pk_add_f32 v[64:65], v[48:49], v[50:51] op_sel:[0,1] op_sel_hi:[1,0]
	v_add_co_u32_e32 v74, vcc, s4, v68
	v_mov_b32_e32 v57, v65
	v_pk_fma_f32 v[64:65], v[48:49], 2.0, v[56:57] op_sel_hi:[1,0,1] neg_lo:[0,0,1] neg_hi:[0,0,1]
	v_addc_co_u32_e32 v75, vcc, 0, v69, vcc
	global_store_dwordx2 v[74:75], v[64:65], off offset:1024
	v_pk_fma_f32 v[48:49], v[42:43], 2.0, v[48:49] op_sel_hi:[1,0,1] neg_lo:[0,0,1] neg_hi:[0,0,1]
	v_pk_fma_f32 v[50:51], v[70:71], 2.0, v[50:51] op_sel_hi:[1,0,1] neg_lo:[0,0,1] neg_hi:[0,0,1]
	v_add_co_u32_e32 v64, vcc, s1, v68
	v_pk_add_f32 v[50:51], v[48:49], v[50:51] neg_lo:[0,1] neg_hi:[0,1]
	s_nop 0
	v_addc_co_u32_e32 v65, vcc, 0, v69, vcc
	ds_read2st64_b32 v[42:43], v46 offset0:16 offset1:18
	ds_read2st64_b32 v[58:59], v46 offset0:36 offset1:38
	global_store_dwordx2 v[64:65], v[50:51], off offset:2048
	v_pk_fma_f32 v[48:49], v[48:49], 2.0, v[50:51] op_sel_hi:[1,0,1] neg_lo:[0,0,1] neg_hi:[0,0,1]
	ds_read2st64_b32 v[50:51], v46 offset0:32 offset1:34
	s_movk_i32 s1, 0x3000
	global_store_dwordx2 v[68:69], v[48:49], off
	v_add_co_u32_e32 v48, vcc, s1, v68
	s_waitcnt vmcnt(6)
	v_mov_b32_e32 v68, v55
	v_addc_co_u32_e32 v49, vcc, 0, v69, vcc
	s_waitcnt vmcnt(5)
	v_mov_b32_e32 v69, v72
	global_store_dwordx2 v[48:49], v[56:57], off offset:3072
	v_mov_b32_e32 v56, v39
	s_waitcnt lgkmcnt(0)
	v_mov_b32_e32 v57, v50
	v_mov_b32_e32 v66, v30
	;; [unrolled: 1-line block ×4, first 2 shown]
	v_pk_mul_f32 v[56:57], v[56:57], v[68:69]
	v_mov_b32_e32 v72, v55
	v_pk_fma_f32 v[48:49], v[66:67], v[48:49], v[56:57] op_sel:[0,0,1] op_sel_hi:[1,1,0]
	ds_read2st64_b32 v[56:57], v46 offset0:24 offset1:26
	ds_read2st64_b32 v[46:47], v46 offset0:12 offset1:14
	ds_read_b32 v33, v1
	v_mov_b32_e32 v66, v67
	v_mov_b32_e32 v67, v50
	v_pk_mul_f32 v[66:67], v[72:73], v[66:67]
	v_mov_b32_e32 v38, v39
	v_mov_b32_e32 v39, v30
	;; [unrolled: 1-line block ×3, first 2 shown]
	s_waitcnt lgkmcnt(1)
	v_pk_mul_f32 v[54:55], v[52:53], v[46:47] op_sel_hi:[1,0]
	v_pk_fma_f32 v[38:39], v[38:39], v[68:69], v[66:67] neg_lo:[0,0,1] neg_hi:[0,0,1]
	v_pk_fma_f32 v[66:67], v[28:29], v[52:53], v[54:55] op_sel:[0,0,1] op_sel_hi:[1,1,0] neg_lo:[0,0,1] neg_hi:[0,0,1]
	v_pk_fma_f32 v[52:53], v[28:29], v[52:53], v[54:55] op_sel:[0,0,1] op_sel_hi:[0,1,0]
	v_mov_b32_e32 v67, v53
	v_mov_b32_e32 v52, v53
	s_waitcnt lgkmcnt(0)
	v_mov_b32_e32 v53, v33
	v_pk_add_f32 v[48:49], v[52:53], v[48:49] neg_lo:[0,1] neg_hi:[0,1]
	v_mov_b32_e32 v52, v32
	v_mov_b32_e32 v53, v66
	v_mul_hi_u32 v22, v13, s0
	v_pk_add_f32 v[38:39], v[52:53], v[38:39] neg_lo:[0,1] neg_hi:[0,1]
	v_lshrrev_b32_e32 v22, 9, v22
	v_mov_b32_e32 v52, v39
	v_mov_b32_e32 v53, v48
	;; [unrolled: 1-line block ×3, first 2 shown]
	v_mul_u32_u24_e32 v34, 0x280, v22
	v_pk_fma_f32 v[52:53], v[66:67], 2.0, v[52:53] op_sel_hi:[1,0,1] neg_lo:[0,0,1] neg_hi:[0,0,1]
	v_mov_b32_e32 v66, v38
	v_mov_b32_e32 v67, v49
	v_sub_u32_e32 v13, v13, v34
	s_movk_i32 s1, 0xa00
	v_pk_fma_f32 v[32:33], v[32:33], 2.0, v[66:67] op_sel_hi:[1,0,1] neg_lo:[0,0,1] neg_hi:[0,0,1]
	v_mad_u32_u24 v22, v22, s1, v13
	v_pk_add_f32 v[52:53], v[32:33], v[52:53] neg_lo:[0,1] neg_hi:[0,1]
	v_add_u32_e32 v1, 0x100, v0
	v_lshl_add_u64 v[54:55], v[22:23], 3, v[10:11]
	v_pk_fma_f32 v[32:33], v[32:33], 2.0, v[52:53] op_sel_hi:[1,0,1] neg_lo:[0,0,1] neg_hi:[0,0,1]
	v_mul_hi_u32 v13, v1, s0
	v_add_u32_e32 v68, 0x280, v22
	global_store_dwordx2 v[54:55], v[32:33], off
	v_add_u32_e32 v32, 0x500, v22
	v_add_u32_e32 v22, 0x780, v22
	v_lshrrev_b32_e32 v13, 9, v13
	v_pk_add_f32 v[54:55], v[38:39], v[48:49] neg_lo:[0,1] neg_hi:[0,1]
	v_pk_add_f32 v[38:39], v[38:39], v[48:49]
	v_lshl_add_u64 v[48:49], v[22:23], 3, v[10:11]
	v_mul_u32_u24_e32 v22, 0x280, v13
	v_mov_b32_e32 v69, v23
	v_mov_b32_e32 v33, v23
	;; [unrolled: 1-line block ×3, first 2 shown]
	v_sub_u32_e32 v1, v1, v22
	v_lshl_add_u64 v[68:69], v[68:69], 3, v[10:11]
	v_lshl_add_u64 v[32:33], v[32:33], 3, v[10:11]
	v_pk_fma_f32 v[38:39], v[66:67], 2.0, v[54:55] op_sel_hi:[1,0,1] neg_lo:[0,0,1] neg_hi:[0,0,1]
	v_mad_u32_u24 v22, v13, s1, v1
	s_waitcnt vmcnt(6)
	v_mov_b32_e32 v70, v63
	s_waitcnt vmcnt(5)
	v_mov_b32_e32 v71, v82
	global_store_dwordx2 v[68:69], v[38:39], off
	global_store_dwordx2 v[32:33], v[52:53], off
	;; [unrolled: 1-line block ×3, first 2 shown]
	v_lshl_add_u64 v[32:33], v[22:23], 3, v[10:11]
	v_add_u32_e32 v38, 0x280, v22
	v_add_u32_e32 v48, 0x500, v22
	;; [unrolled: 1-line block ×3, first 2 shown]
	v_mov_b32_e32 v50, v24
	v_mov_b32_e32 v28, v47
	v_lshl_add_u64 v[52:53], v[22:23], 3, v[10:11]
	v_pk_mul_f32 v[68:69], v[50:51], v[70:71]
	v_mov_b32_e32 v30, v24
	v_mov_b32_e32 v82, v63
	;; [unrolled: 1-line block ×5, first 2 shown]
	v_pk_mul_f32 v[28:29], v[60:61], v[28:29] op_sel_hi:[1,0]
	v_mov_b32_e32 v54, v31
	v_mov_b32_e32 v55, v56
	;; [unrolled: 1-line block ×5, first 2 shown]
	v_pk_mul_f32 v[50:51], v[82:83], v[50:51]
	v_pk_fma_f32 v[46:47], v[22:23], v[60:61], v[28:29] op_sel:[0,0,1] op_sel_hi:[1,1,0] neg_lo:[0,0,1] neg_hi:[0,0,1]
	v_pk_fma_f32 v[28:29], v[24:25], v[60:61], v[28:29] op_sel:[0,0,1] op_sel_hi:[0,1,0]
	v_pk_fma_f32 v[54:55], v[54:55], v[66:67], v[68:69] op_sel:[0,0,1] op_sel_hi:[1,1,0]
	v_pk_fma_f32 v[30:31], v[30:31], v[70:71], v[50:51] neg_lo:[0,0,1] neg_hi:[0,0,1]
	v_mov_b32_e32 v47, v29
	v_mov_b32_e32 v28, v29
	;; [unrolled: 1-line block ×5, first 2 shown]
	v_pk_add_f32 v[28:29], v[28:29], v[54:55] neg_lo:[0,1] neg_hi:[0,1]
	v_pk_add_f32 v[30:31], v[50:51], v[30:31] neg_lo:[0,1] neg_hi:[0,1]
	v_mov_b32_e32 v39, v23
	v_pk_add_f32 v[50:51], v[30:31], v[28:29] neg_lo:[0,1] neg_hi:[0,1]
	v_pk_add_f32 v[54:55], v[30:31], v[28:29]
	v_mov_b32_e32 v64, v9
	v_mov_b32_e32 v51, v55
	;; [unrolled: 1-line block ×6, first 2 shown]
	v_pk_fma_f32 v[26:27], v[26:27], 2.0, v[54:55] op_sel_hi:[1,0,1] neg_lo:[0,0,1] neg_hi:[0,0,1]
	v_pk_fma_f32 v[28:29], v[46:47], 2.0, v[30:31] op_sel_hi:[1,0,1] neg_lo:[0,0,1] neg_hi:[0,0,1]
	v_mov_b32_e32 v65, v40
	v_pk_add_f32 v[28:29], v[26:27], v[28:29] neg_lo:[0,1] neg_hi:[0,1]
	v_lshl_add_u64 v[38:39], v[38:39], 3, v[10:11]
	v_pk_fma_f32 v[26:27], v[26:27], 2.0, v[28:29] op_sel_hi:[1,0,1] neg_lo:[0,0,1] neg_hi:[0,0,1]
	v_mov_b32_e32 v49, v23
	global_store_dwordx2 v[32:33], v[26:27], off
	v_pk_fma_f32 v[26:27], v[54:55], 2.0, v[50:51] op_sel_hi:[1,0,1] neg_lo:[0,0,1] neg_hi:[0,0,1]
	v_mov_b32_e32 v46, v25
	v_mov_b32_e32 v47, v58
	v_lshl_add_u64 v[48:49], v[48:49], 3, v[10:11]
	global_store_dwordx2 v[38:39], v[26:27], off
	global_store_dwordx2 v[48:49], v[28:29], off
	;; [unrolled: 1-line block ×3, first 2 shown]
	v_mov_b32_e32 v39, v8
	v_pk_mul_f32 v[46:47], v[46:47], v[64:65]
	v_mov_b32_e32 v64, v8
	v_mov_b32_e32 v40, v9
	v_mov_b32_e32 v8, v57
	v_mov_b32_e32 v9, v58
	v_mov_b32_e32 v24, v25
	v_mov_b32_e32 v25, v18
	v_pk_mul_f32 v[8:9], v[40:41], v[8:9]
	v_mov_b32_e32 v56, v18
	v_pk_fma_f32 v[8:9], v[24:25], v[64:65], v[8:9] neg_lo:[0,0,1] neg_hi:[0,0,1]
	v_pk_mul_f32 v[24:25], v[6:7], v[42:43] op_sel_hi:[1,0]
	v_mov_b32_e32 v38, v41
	v_pk_fma_f32 v[40:41], v[16:17], v[6:7], v[24:25] op_sel:[0,0,1] op_sel_hi:[1,1,0] neg_lo:[0,0,1] neg_hi:[0,0,1]
	v_pk_fma_f32 v[6:7], v[16:17], v[6:7], v[24:25] op_sel:[0,0,1] op_sel_hi:[0,1,0]
	v_add_u32_e32 v1, 0x180, v0
	v_pk_fma_f32 v[38:39], v[56:57], v[38:39], v[46:47] op_sel:[0,0,1] op_sel_hi:[1,1,0]
	v_mov_b32_e32 v41, v7
	v_mov_b32_e32 v6, v7
	;; [unrolled: 1-line block ×5, first 2 shown]
	v_mul_hi_u32 v13, v1, s0
	v_pk_add_f32 v[6:7], v[6:7], v[38:39] neg_lo:[0,1] neg_hi:[0,1]
	v_pk_add_f32 v[8:9], v[24:25], v[8:9] neg_lo:[0,1] neg_hi:[0,1]
	v_lshrrev_b32_e32 v13, 9, v13
	v_pk_add_f32 v[24:25], v[8:9], v[6:7] neg_lo:[0,1] neg_hi:[0,1]
	v_pk_add_f32 v[38:39], v[8:9], v[6:7]
	v_mul_u32_u24_e32 v22, 0x280, v13
	v_mov_b32_e32 v25, v39
	v_mov_b32_e32 v38, v8
	;; [unrolled: 1-line block ×5, first 2 shown]
	v_sub_u32_e32 v1, v1, v22
	v_pk_fma_f32 v[20:21], v[20:21], 2.0, v[38:39] op_sel_hi:[1,0,1] neg_lo:[0,0,1] neg_hi:[0,0,1]
	v_pk_fma_f32 v[6:7], v[40:41], 2.0, v[8:9] op_sel_hi:[1,0,1] neg_lo:[0,0,1] neg_hi:[0,0,1]
	v_mad_u32_u24 v22, v13, s1, v1
	v_pk_add_f32 v[6:7], v[20:21], v[6:7] neg_lo:[0,1] neg_hi:[0,1]
	v_add_u32_e32 v0, 0x200, v0
	v_lshl_add_u64 v[26:27], v[22:23], 3, v[10:11]
	v_add_u32_e32 v28, 0x280, v22
	v_mov_b32_e32 v29, v23
	v_pk_fma_f32 v[8:9], v[20:21], 2.0, v[6:7] op_sel_hi:[1,0,1] neg_lo:[0,0,1] neg_hi:[0,0,1]
	v_mul_hi_u32 v1, v0, s0
	v_lshl_add_u64 v[28:29], v[28:29], 3, v[10:11]
	v_add_u32_e32 v30, 0x500, v22
	v_mov_b32_e32 v31, v23
	v_add_u32_e32 v22, 0x780, v22
	global_store_dwordx2 v[26:27], v[8:9], off
	v_pk_fma_f32 v[8:9], v[38:39], 2.0, v[24:25] op_sel_hi:[1,0,1] neg_lo:[0,0,1] neg_hi:[0,0,1]
	v_lshrrev_b32_e32 v1, 9, v1
	v_lshl_add_u64 v[30:31], v[30:31], 3, v[10:11]
	v_lshl_add_u64 v[32:33], v[22:23], 3, v[10:11]
	global_store_dwordx2 v[28:29], v[8:9], off
	global_store_dwordx2 v[30:31], v[6:7], off
	;; [unrolled: 1-line block ×3, first 2 shown]
	v_mul_u32_u24_e32 v6, 0x280, v1
	v_sub_u32_e32 v0, v0, v6
	v_mad_u32_u24 v22, v1, s1, v0
	v_mov_b32_e32 v44, v5
	v_lshl_add_u64 v[0:1], v[22:23], 3, v[10:11]
	v_add_u32_e32 v6, 0x280, v22
	v_mov_b32_e32 v7, v23
	v_add_u32_e32 v8, 0x500, v22
	v_mov_b32_e32 v9, v23
	;; [unrolled: 2-line block ×3, first 2 shown]
	v_mov_b32_e32 v34, v5
	v_mov_b32_e32 v37, v59
	v_lshl_add_u64 v[6:7], v[6:7], 3, v[10:11]
	v_lshl_add_u64 v[8:9], v[8:9], 3, v[10:11]
	;; [unrolled: 1-line block ×3, first 2 shown]
	v_mov_b32_e32 v23, v4
	v_pk_mul_f32 v[24:25], v[12:13], v[44:45]
	v_mov_b32_e32 v13, v19
	v_mov_b32_e32 v44, v4
	v_pk_mul_f32 v[4:5], v[34:35], v[36:37]
	v_mov_b32_e32 v18, v43
	v_mov_b32_e32 v20, v19
	v_pk_fma_f32 v[4:5], v[12:13], v[44:45], v[4:5] neg_lo:[0,0,1] neg_hi:[0,0,1]
	v_mov_b32_e32 v12, v17
	v_mov_b32_e32 v16, v17
	v_pk_mul_f32 v[18:19], v[2:3], v[18:19] op_sel_hi:[1,0]
	v_mov_b32_e32 v21, v36
	v_mov_b32_e32 v22, v35
	v_pk_fma_f32 v[12:13], v[12:13], v[2:3], v[18:19] op_sel:[0,0,1] op_sel_hi:[1,1,0] neg_lo:[0,0,1] neg_hi:[0,0,1]
	v_pk_fma_f32 v[2:3], v[16:17], v[2:3], v[18:19] op_sel:[0,0,1] op_sel_hi:[0,1,0]
	v_pk_fma_f32 v[20:21], v[20:21], v[22:23], v[24:25] op_sel:[0,0,1] op_sel_hi:[1,1,0]
	v_mov_b32_e32 v13, v3
	v_mov_b32_e32 v2, v3
	v_mov_b32_e32 v3, v15
	v_mov_b32_e32 v16, v14
	v_mov_b32_e32 v17, v12
	v_pk_add_f32 v[2:3], v[2:3], v[20:21] neg_lo:[0,1] neg_hi:[0,1]
	v_pk_add_f32 v[4:5], v[16:17], v[4:5] neg_lo:[0,1] neg_hi:[0,1]
	s_nop 0
	v_pk_add_f32 v[16:17], v[4:5], v[2:3] neg_lo:[0,1] neg_hi:[0,1]
	v_pk_add_f32 v[18:19], v[4:5], v[2:3]
	s_nop 0
	v_mov_b32_e32 v17, v19
	v_mov_b32_e32 v18, v4
	v_mov_b32_e32 v19, v3
	v_mov_b32_e32 v4, v5
	v_mov_b32_e32 v5, v2
	v_pk_fma_f32 v[14:15], v[14:15], 2.0, v[18:19] op_sel_hi:[1,0,1] neg_lo:[0,0,1] neg_hi:[0,0,1]
	v_pk_fma_f32 v[2:3], v[12:13], 2.0, v[4:5] op_sel_hi:[1,0,1] neg_lo:[0,0,1] neg_hi:[0,0,1]
	s_nop 0
	v_pk_add_f32 v[2:3], v[14:15], v[2:3] neg_lo:[0,1] neg_hi:[0,1]
	s_nop 0
	v_pk_fma_f32 v[4:5], v[14:15], 2.0, v[2:3] op_sel_hi:[1,0,1] neg_lo:[0,0,1] neg_hi:[0,0,1]
	global_store_dwordx2 v[0:1], v[4:5], off
	v_pk_fma_f32 v[0:1], v[18:19], 2.0, v[16:17] op_sel_hi:[1,0,1] neg_lo:[0,0,1] neg_hi:[0,0,1]
	global_store_dwordx2 v[6:7], v[0:1], off
	global_store_dwordx2 v[8:9], v[2:3], off
	;; [unrolled: 1-line block ×3, first 2 shown]
.LBB0_15:
	s_endpgm
	.section	.rodata,"a",@progbits
	.p2align	6, 0x0
	.amdhsa_kernel fft_rtc_fwd_len2560_factors_4_4_4_10_4_wgs_128_tpt_128_halfLds_sp_op_CI_CI_unitstride_sbrr_dirReg
		.amdhsa_group_segment_fixed_size 0
		.amdhsa_private_segment_fixed_size 0
		.amdhsa_kernarg_size 104
		.amdhsa_user_sgpr_count 2
		.amdhsa_user_sgpr_dispatch_ptr 0
		.amdhsa_user_sgpr_queue_ptr 0
		.amdhsa_user_sgpr_kernarg_segment_ptr 1
		.amdhsa_user_sgpr_dispatch_id 0
		.amdhsa_user_sgpr_kernarg_preload_length 0
		.amdhsa_user_sgpr_kernarg_preload_offset 0
		.amdhsa_user_sgpr_private_segment_size 0
		.amdhsa_uses_dynamic_stack 0
		.amdhsa_enable_private_segment 0
		.amdhsa_system_sgpr_workgroup_id_x 1
		.amdhsa_system_sgpr_workgroup_id_y 0
		.amdhsa_system_sgpr_workgroup_id_z 0
		.amdhsa_system_sgpr_workgroup_info 0
		.amdhsa_system_vgpr_workitem_id 0
		.amdhsa_next_free_vgpr 84
		.amdhsa_next_free_sgpr 28
		.amdhsa_accum_offset 84
		.amdhsa_reserve_vcc 1
		.amdhsa_float_round_mode_32 0
		.amdhsa_float_round_mode_16_64 0
		.amdhsa_float_denorm_mode_32 3
		.amdhsa_float_denorm_mode_16_64 3
		.amdhsa_dx10_clamp 1
		.amdhsa_ieee_mode 1
		.amdhsa_fp16_overflow 0
		.amdhsa_tg_split 0
		.amdhsa_exception_fp_ieee_invalid_op 0
		.amdhsa_exception_fp_denorm_src 0
		.amdhsa_exception_fp_ieee_div_zero 0
		.amdhsa_exception_fp_ieee_overflow 0
		.amdhsa_exception_fp_ieee_underflow 0
		.amdhsa_exception_fp_ieee_inexact 0
		.amdhsa_exception_int_div_zero 0
	.end_amdhsa_kernel
	.text
.Lfunc_end0:
	.size	fft_rtc_fwd_len2560_factors_4_4_4_10_4_wgs_128_tpt_128_halfLds_sp_op_CI_CI_unitstride_sbrr_dirReg, .Lfunc_end0-fft_rtc_fwd_len2560_factors_4_4_4_10_4_wgs_128_tpt_128_halfLds_sp_op_CI_CI_unitstride_sbrr_dirReg
                                        ; -- End function
	.section	.AMDGPU.csdata,"",@progbits
; Kernel info:
; codeLenInByte = 10340
; NumSgprs: 34
; NumVgprs: 84
; NumAgprs: 0
; TotalNumVgprs: 84
; ScratchSize: 0
; MemoryBound: 0
; FloatMode: 240
; IeeeMode: 1
; LDSByteSize: 0 bytes/workgroup (compile time only)
; SGPRBlocks: 4
; VGPRBlocks: 10
; NumSGPRsForWavesPerEU: 34
; NumVGPRsForWavesPerEU: 84
; AccumOffset: 84
; Occupancy: 5
; WaveLimiterHint : 1
; COMPUTE_PGM_RSRC2:SCRATCH_EN: 0
; COMPUTE_PGM_RSRC2:USER_SGPR: 2
; COMPUTE_PGM_RSRC2:TRAP_HANDLER: 0
; COMPUTE_PGM_RSRC2:TGID_X_EN: 1
; COMPUTE_PGM_RSRC2:TGID_Y_EN: 0
; COMPUTE_PGM_RSRC2:TGID_Z_EN: 0
; COMPUTE_PGM_RSRC2:TIDIG_COMP_CNT: 0
; COMPUTE_PGM_RSRC3_GFX90A:ACCUM_OFFSET: 20
; COMPUTE_PGM_RSRC3_GFX90A:TG_SPLIT: 0
	.text
	.p2alignl 6, 3212836864
	.fill 256, 4, 3212836864
	.type	__hip_cuid_125bda22efde044a,@object ; @__hip_cuid_125bda22efde044a
	.section	.bss,"aw",@nobits
	.globl	__hip_cuid_125bda22efde044a
__hip_cuid_125bda22efde044a:
	.byte	0                               ; 0x0
	.size	__hip_cuid_125bda22efde044a, 1

	.ident	"AMD clang version 19.0.0git (https://github.com/RadeonOpenCompute/llvm-project roc-6.4.0 25133 c7fe45cf4b819c5991fe208aaa96edf142730f1d)"
	.section	".note.GNU-stack","",@progbits
	.addrsig
	.addrsig_sym __hip_cuid_125bda22efde044a
	.amdgpu_metadata
---
amdhsa.kernels:
  - .agpr_count:     0
    .args:
      - .actual_access:  read_only
        .address_space:  global
        .offset:         0
        .size:           8
        .value_kind:     global_buffer
      - .offset:         8
        .size:           8
        .value_kind:     by_value
      - .actual_access:  read_only
        .address_space:  global
        .offset:         16
        .size:           8
        .value_kind:     global_buffer
      - .actual_access:  read_only
        .address_space:  global
        .offset:         24
        .size:           8
        .value_kind:     global_buffer
      - .actual_access:  read_only
        .address_space:  global
        .offset:         32
        .size:           8
        .value_kind:     global_buffer
      - .offset:         40
        .size:           8
        .value_kind:     by_value
      - .actual_access:  read_only
        .address_space:  global
        .offset:         48
        .size:           8
        .value_kind:     global_buffer
      - .actual_access:  read_only
        .address_space:  global
        .offset:         56
        .size:           8
        .value_kind:     global_buffer
      - .offset:         64
        .size:           4
        .value_kind:     by_value
      - .actual_access:  read_only
        .address_space:  global
        .offset:         72
        .size:           8
        .value_kind:     global_buffer
      - .actual_access:  read_only
        .address_space:  global
        .offset:         80
        .size:           8
        .value_kind:     global_buffer
      - .actual_access:  read_only
        .address_space:  global
        .offset:         88
        .size:           8
        .value_kind:     global_buffer
      - .actual_access:  write_only
        .address_space:  global
        .offset:         96
        .size:           8
        .value_kind:     global_buffer
    .group_segment_fixed_size: 0
    .kernarg_segment_align: 8
    .kernarg_segment_size: 104
    .language:       OpenCL C
    .language_version:
      - 2
      - 0
    .max_flat_workgroup_size: 128
    .name:           fft_rtc_fwd_len2560_factors_4_4_4_10_4_wgs_128_tpt_128_halfLds_sp_op_CI_CI_unitstride_sbrr_dirReg
    .private_segment_fixed_size: 0
    .sgpr_count:     34
    .sgpr_spill_count: 0
    .symbol:         fft_rtc_fwd_len2560_factors_4_4_4_10_4_wgs_128_tpt_128_halfLds_sp_op_CI_CI_unitstride_sbrr_dirReg.kd
    .uniform_work_group_size: 1
    .uses_dynamic_stack: false
    .vgpr_count:     84
    .vgpr_spill_count: 0
    .wavefront_size: 64
amdhsa.target:   amdgcn-amd-amdhsa--gfx950
amdhsa.version:
  - 1
  - 2
...

	.end_amdgpu_metadata
